;; amdgpu-corpus repo=ROCm/aiter kind=harvested arch=n/a opt=n/a

/root/src/amdgpu-assembly/repos/ROCm__aiter/hsa/gfx942/fmoe_2stages/fmoe_stage1_bf16_pertokenFp8_g1u1_48x64_3tg_pf3.co:	file format elf64-amdgpu

Disassembly of section .text:

0000000000002a00 <_ZN5aiter47fmoe_stage1_bf16_pertokenFp8_g1u1_48x64_3tg_pf3E>:
	s_and_b32 s1, s1, 0xffff                                   // 000000002A00: 8601FF01 0000FFFF
	s_load_dwordx2 s[8:9], s[0:1], 0x0                         // 000000002A08: C0060200 00000000
	s_load_dwordx2 s[20:21], s[0:1], 0x10                      // 000000002A10: C0060500 00000010
	s_load_dwordx2 s[24:25], s[0:1], 0x20                      // 000000002A18: C0060600 00000020
	s_load_dwordx2 s[48:49], s[0:1], 0x30                      // 000000002A20: C0060C00 00000030
	s_load_dwordx2 s[28:29], s[0:1], 0x40                      // 000000002A28: C0060700 00000040
	s_load_dwordx2 s[32:33], s[0:1], 0x50                      // 000000002A30: C0060800 00000050
	s_load_dwordx2 s[36:37], s[0:1], 0x60                      // 000000002A38: C0060900 00000060
	s_load_dwordx2 s[12:13], s[0:1], 0x70                      // 000000002A40: C0060300 00000070
	s_load_dwordx2 s[44:45], s[0:1], 0x80                      // 000000002A48: C0060B00 00000080
	s_mov_b32 s89, 0                                           // 000000002A50: BED90080
	s_load_dword s64, s[0:1], 0x90                             // 000000002A54: C0021000 00000090
	s_load_dword s65, s[0:1], 0xa0                             // 000000002A5C: C0021040 000000A0
	s_load_dword s66, s[0:1], 0xb0                             // 000000002A64: C0021080 000000B0
	s_load_dword s67, s[0:1], 0xc0                             // 000000002A6C: C00210C0 000000C0
	s_load_dword s68, s[0:1], 0xd0                             // 000000002A74: C0021100 000000D0
	s_load_dword s69, s[0:1], 0xe0                             // 000000002A7C: C0021140 000000E0
	s_load_dword s71, s[0:1], 0xf0                             // 000000002A84: C00211C0 000000F0
	s_load_dword s72, s[0:1], 0x100                            // 000000002A8C: C0021200 00000100
	s_load_dword s74, s[0:1], 0x110                            // 000000002A94: C0021280 00000110
	s_load_dword s76, s[0:1], 0x120                            // 000000002A9C: C0021300 00000120
	s_load_dword s56, s[0:1], 0x130                            // 000000002AA4: C0020E00 00000130
	s_load_dword s88, s[0:1], 0x140                            // 000000002AAC: C0021600 00000140
	s_load_dword s89, s[0:1], 0x150                            // 000000002AB4: C0021640 00000150
	v_lshrrev_b32_e32 v1, 10, v0                               // 000000002ABC: 2002008A
	v_lshrrev_b32_e32 v2, 10, v1                               // 000000002AC0: 2004028A
	v_and_b32_e32 v2, 0x3ff, v2                                // 000000002AC4: 260404FF 000003FF
	v_and_b32_e32 v1, 0x3ff, v1                                // 000000002ACC: 260202FF 000003FF
	v_and_b32_e32 v0, 0x3ff, v0                                // 000000002AD4: 260000FF 000003FF
	v_lshrrev_b32_e32 v3, 6, v0                                // 000000002ADC: 20060086
	v_and_b32_e32 v0, 63, v0                                   // 000000002AE0: 260000BF
	s_mov_b32 s2, s2                                           // 000000002AE4: BE820002
	s_mov_b32 s3, s3                                           // 000000002AE8: BE830003
	s_mov_b32 s4, s4                                           // 000000002AEC: BE840004
	v_readfirstlane_b32 s7, v3                                 // 000000002AF0: 7E0E0503
	s_waitcnt lgkmcnt(0)                                       // 000000002AF4: BF8CC07F
	s_and_b32 s49, s49, 0xffff                                 // 000000002AF8: 8631FF31 0000FFFF
	s_load_dword s48, s[48:49], 0x0                            // 000000002B00: C0020C18 00000000
	s_and_b32 s45, s45, 0xffff                                 // 000000002B08: 862DFF2D 0000FFFF
	s_and_b32 s9, s9, 0xffff                                   // 000000002B10: 8609FF09 0000FFFF
	s_mul_i32 s60, s66, s68                                    // 000000002B18: 923C4442
	s_mul_i32 s61, s66, 4                                      // 000000002B1C: 923D8442
	s_mov_b32 s22, s60                                         // 000000002B20: BE96003C
	s_mov_b32 s26, -16                                         // 000000002B24: BE9A00D0
	s_mov_b32 s30, s61                                         // 000000002B28: BE9E003D
	s_mov_b32 s14, 0xc0                                        // 000000002B2C: BE8E00FF 000000C0
	s_mov_b32 s38, -16                                         // 000000002B34: BEA600D0
	s_mov_b32 s10, -16                                         // 000000002B38: BE8A00D0
	s_mov_b32 s34, 0x100                                       // 000000002B3C: BEA200FF 00000100
	s_mov_b32 s23, 0x20000                                     // 000000002B44: BE9700FF 00020000
	s_mov_b32 s27, 0x20000                                     // 000000002B4C: BE9B00FF 00020000
	s_mov_b32 s31, 0x20000                                     // 000000002B54: BE9F00FF 00020000
	s_mov_b32 s35, 0x20000                                     // 000000002B5C: BEA300FF 00020000
	s_mov_b32 s15, 0x20000                                     // 000000002B64: BE8F00FF 00020000
	s_mov_b32 s39, 0x20000                                     // 000000002B6C: BEA700FF 00020000
	s_mov_b32 s11, 0x20000                                     // 000000002B74: BE8B00FF 00020000
	s_and_b32 s21, s21, 0xffff                                 // 000000002B7C: 8615FF15 0000FFFF
	s_and_b32 s25, s25, 0xffff                                 // 000000002B84: 8619FF19 0000FFFF
	s_and_b32 s29, s29, 0xffff                                 // 000000002B8C: 861DFF1D 0000FFFF
	s_and_b32 s33, s33, 0xffff                                 // 000000002B94: 8621FF21 0000FFFF
	s_and_b32 s13, s13, 0xffff                                 // 000000002B9C: 860DFF0D 0000FFFF
	s_and_b32 s37, s37, 0xffff                                 // 000000002BA4: 8625FF25 0000FFFF
	s_or_b32 s21, s21, 0x40000                                 // 000000002BAC: 8715FF15 00040000
	s_or_b32 s25, s25, 0x40000                                 // 000000002BB4: 8719FF19 00040000
	s_or_b32 s29, s29, 0x40000                                 // 000000002BBC: 871DFF1D 00040000
	s_or_b32 s33, s33, 0x40000                                 // 000000002BC4: 8721FF21 00040000
	s_or_b32 s13, s13, 0x40000                                 // 000000002BCC: 870DFF0D 00040000
	s_or_b32 s37, s37, 0x40000                                 // 000000002BD4: 8725FF25 00040000
	v_accvgpr_write_b32 a71, 0                                 // 000000002BDC: D3D94047 18000080
	v_mov_b32_e32 v75, 0                                       // 000000002BE4: 7E960280
	s_waitcnt lgkmcnt(0)                                       // 000000002BE8: BF8CC07F
	s_mul_i32 s60, s3, 48                                      // 000000002BEC: 923CB003
	s_cmp_lt_i32 s60, s48                                      // 000000002BF0: BF04303C
	s_cbranch_scc0 label_11ED                                  // 000000002BF4: BF84116C
	s_mov_b32 s80, 0                                           // 000000002BF8: BED00080
	s_lshr_b32 s81, s64, s88                                   // 000000002BFC: 8F515840
	s_mul_i32 s60, s3, 4                                       // 000000002C00: 923C8403
	s_add_u32 s44, s60, s44                                    // 000000002C04: 802C2C3C
	s_addc_u32 s45, 0, s45                                     // 000000002C08: 822D2D80
	s_load_dword s5, s[44:45], 0x0                             // 000000002C0C: C0020156 00000000
	s_mul_i32 s60, s3, 48                                      // 000000002C14: 923CB003
	s_mul_i32 s60, 4, s60                                      // 000000002C18: 923C3C84
	s_add_u32 s12, s60, s12                                    // 000000002C1C: 800C0C3C
	s_addc_u32 s13, 0, s13                                     // 000000002C20: 820D0D80
	v_and_b32_e32 v4, 15, v0                                   // 000000002C24: 2608008F
	v_lshlrev_b32_e32 v4, 2, v4                                // 000000002C28: 24080882
	buffer_load_dword v30, v4, s[12:15], 0 offen               // 000000002C2C: E0501000 80031E04
	v_add_u32_e32 v4, 64, v4                                   // 000000002C34: 680808C0
	buffer_load_dword v31, v4, s[12:15], 0 offen               // 000000002C38: E0501000 80031F04
	v_add_u32_e32 v4, 64, v4                                   // 000000002C40: 680808C0
	buffer_load_dword v32, v4, s[12:15], 0 offen               // 000000002C44: E0501000 80032004
	v_add_u32_e32 v4, 64, v4                                   // 000000002C4C: 680808C0
	s_mul_i32 s60, 4, s7                                       // 000000002C50: 923C0784
	v_lshlrev_b32_e32 v4, 4, v0                                // 000000002C54: 24080084
	v_add_u32_e32 v4, s60, v4                                  // 000000002C58: 6808083C
	buffer_load_dword v3, v4, s[12:15], 0 offen                // 000000002C5C: E0501000 80030304
	v_mov_b32_e32 v52, 0                                       // 000000002C64: 7E680280
	v_mov_b32_e32 v64, 0                                       // 000000002C68: 7E800280
	v_mov_b32_e32 v53, 0                                       // 000000002C6C: 7E6A0280
	v_mov_b32_e32 v65, 0                                       // 000000002C70: 7E820280
	v_mov_b32_e32 v54, 0                                       // 000000002C74: 7E6C0280
	v_mov_b32_e32 v66, 0                                       // 000000002C78: 7E840280
	v_mov_b32_e32 v55, 0                                       // 000000002C7C: 7E6E0280
	v_mov_b32_e32 v67, 0                                       // 000000002C80: 7E860280
	v_mov_b32_e32 v56, 0                                       // 000000002C84: 7E700280
	v_mov_b32_e32 v68, 0                                       // 000000002C88: 7E880280
	v_mov_b32_e32 v57, 0                                       // 000000002C8C: 7E720280
	v_mov_b32_e32 v69, 0                                       // 000000002C90: 7E8A0280
	v_mov_b32_e32 v58, 0                                       // 000000002C94: 7E740280
	v_mov_b32_e32 v70, 0                                       // 000000002C98: 7E8C0280
	v_mov_b32_e32 v59, 0                                       // 000000002C9C: 7E760280
	v_mov_b32_e32 v71, 0                                       // 000000002CA0: 7E8E0280
	v_mov_b32_e32 v60, 0                                       // 000000002CA4: 7E780280
	v_mov_b32_e32 v72, 0                                       // 000000002CA8: 7E900280
	v_mov_b32_e32 v61, 0                                       // 000000002CAC: 7E7A0280
	v_mov_b32_e32 v73, 0                                       // 000000002CB0: 7E920280
	v_mov_b32_e32 v62, 0                                       // 000000002CB4: 7E7C0280
	v_mov_b32_e32 v74, 0                                       // 000000002CB8: 7E940280
	v_mov_b32_e32 v63, 0                                       // 000000002CBC: 7E7E0280
	v_mov_b32_e32 v75, 0                                       // 000000002CC0: 7E960280
	s_mul_i32 s60, s2, 0x80                                    // 000000002CC4: 923CFF02 00000080
	s_cmp_eq_u32 s88, 0                                        // 000000002CCC: BF068058
	s_cselect_b32 s61, 1, 2                                    // 000000002CD0: 853D8281
	s_mul_i32 s60, s60, s61                                    // 000000002CD4: 923C3D3C
	s_mov_b32 s90, s8                                          // 000000002CD8: BEDA0008
	s_mov_b32 s91, s9                                          // 000000002CDC: BEDB0009
	s_add_u32 s8, s60, s8                                      // 000000002CE0: 8008083C
	s_addc_u32 s9, 0, s9                                       // 000000002CE4: 82090980
	v_lshrrev_b32_e32 v4, 4, v0                                // 000000002CE8: 20080084
	v_mul_lo_u32 v20, 34, v4                                   // 000000002CEC: D2850014 000208A2
	v_and_b32_e32 v4, 15, v0                                   // 000000002CF4: 2608008F
	v_mul_lo_u32 v5, 2, v4                                     // 000000002CF8: D2850005 00020882
	v_add_u32_e32 v20, v5, v20                                 // 000000002D00: 68282905
	s_mul_i32 s60, s7, 0x88                                    // 000000002D04: 923CFF07 00000088
	v_add_u32_e32 v20, s60, v20                                // 000000002D0C: 6828283C
	v_lshlrev_b32_e32 v20, 2, v20                              // 000000002D10: 24282882
	v_and_b32_e32 v4, 31, v0                                   // 000000002D14: 2608009F
	v_lshrrev_b32_e32 v4, 1, v4                                // 000000002D18: 20080881
	v_mul_lo_u32 v21, 34, v4                                   // 000000002D1C: D2850015 000208A2
	v_lshrrev_b32_e32 v4, 5, v0                                // 000000002D24: 20080085
	v_mul_lo_u32 v4, 8, v4                                     // 000000002D28: D2850004 00020888
	v_add_u32_e32 v21, v21, v4                                 // 000000002D30: 682A0915
	v_and_b32_e32 v5, 1, v0                                    // 000000002D34: 260A0081
	v_add_u32_e32 v21, v5, v21                                 // 000000002D38: 682A2B05
	s_mul_i32 s60, s7, 2                                       // 000000002D3C: 923C8207
	v_add_u32_e32 v21, s60, v21                                // 000000002D40: 682A2A3C
	v_lshlrev_b32_e32 v21, 2, v21                              // 000000002D44: 242A2A82
	s_mul_i32 s60, s7, 0x620                                   // 000000002D48: 923CFF07 00000620
	s_add_u32 s48, 0, s60                                      // 000000002D50: 80303C80
	s_add_u32 s49, 0x1880, s48                                 // 000000002D54: 803130FF 00001880
	s_add_u32 s50, 0x1880, s49                                 // 000000002D5C: 803231FF 00001880
	v_lshrrev_b32_e32 v4, 4, v0                                // 000000002D64: 20080084
	v_lshlrev_b32_e32 v5, 2, v4                                // 000000002D68: 240A0882
	v_and_b32_e32 v4, 15, v0                                   // 000000002D6C: 2608008F
	v_lshrrev_b32_e32 v6, 2, v4                                // 000000002D70: 200C0882
	v_lshlrev_b32_e32 v6, 5, v6                                // 000000002D74: 240C0C85
	v_add_u32_e32 v5, v6, v5                                   // 000000002D78: 680A0B06
	v_and_b32_e32 v4, 3, v0                                    // 000000002D7C: 26080083
	v_mul_u32_u24_e32 v6, 0x188, v4                            // 000000002D80: 100C08FF 00000188
	v_add_u32_e32 v5, v6, v5                                   // 000000002D88: 680A0B06
	v_lshlrev_b32_e32 v2, 2, v5                                // 000000002D8C: 24040A82
	s_waitcnt lgkmcnt(0)                                       // 000000002D90: BF8CC07F
	s_mul_i32 s60, s2, 64                                      // 000000002D94: 923CC002
	s_mul_i32 s60, s60, s69                                    // 000000002D98: 923C453C
	s_mul_i32 s61, s5, s72                                     // 000000002D9C: 923D4805
	s_add_u32 s60, s61, s60                                    // 000000002DA0: 803C3C3D
	s_add_u32 s24, s60, s24                                    // 000000002DA4: 8018183C
	s_addc_u32 s25, 0, s25                                     // 000000002DA8: 82191980
	s_lshr_b32 s60, s64, s88                                   // 000000002DAC: 8F3C5840
	s_mul_i32 s60, s4, s60                                     // 000000002DB0: 923C3C04
	s_lshr_b32 s60, s60, 7                                     // 000000002DB4: 8F3C873C
	s_mul_i32 s60, s60, 0x800                                  // 000000002DB8: 923CFF3C 00000800
	s_add_u32 s24, s60, s24                                    // 000000002DC0: 8018183C
	s_addc_u32 s25, 0, s25                                     // 000000002DC4: 82191980
	s_lshr_b32 s60, s69, s88                                   // 000000002DC8: 8F3C5845
	s_mul_i32 s60, s4, s60                                     // 000000002DCC: 923C3C04
	s_add_u32 s20, s60, s20                                    // 000000002DD0: 8014143C
	s_addc_u32 s21, 0, s21                                     // 000000002DD4: 82151580
	s_mul_i32 s60, s7, 16                                      // 000000002DD8: 923C9007
	s_mul_i32 s60, s60, s69                                    // 000000002DDC: 923C453C
	v_lshlrev_b32_e32 v48, 4, v0                               // 000000002DE0: 24600084
	v_add_u32_e32 v48, s60, v48                                // 000000002DE4: 6860603C
	s_mul_i32 s60, 64, s69                                     // 000000002DE8: 923C45C0
	s_mov_b32 s84, s24                                         // 000000002DEC: BED40018
	s_mov_b32 s85, s25                                         // 000000002DF0: BED50019
	s_mov_b32 s86, s26                                         // 000000002DF4: BED6001A
	s_mov_b32 s87, s27                                         // 000000002DF8: BED7001B
	s_mul_i32 s60, s69, s65                                    // 000000002DFC: 923C4145
	s_add_u32 s84, s60, s84                                    // 000000002E00: 8054543C
	s_addc_u32 s85, 0, s85                                     // 000000002E04: 82555580
	v_lshrrev_b32_e32 v4, 4, v0                                // 000000002E08: 20080084
	v_lshlrev_b32_e32 v5, 2, v4                                // 000000002E0C: 240A0882
	v_and_b32_e32 v4, 15, v0                                   // 000000002E10: 2608008F
	v_lshrrev_b32_e32 v6, 2, v4                                // 000000002E14: 200C0882
	v_lshlrev_b32_e32 v6, 6, v6                                // 000000002E18: 240C0C86
	v_add_u32_e32 v5, v6, v5                                   // 000000002E1C: 680A0B06
	v_and_b32_e32 v4, 3, v0                                    // 000000002E20: 26080083
	v_add_u32_e32 v5, v4, v5                                   // 000000002E24: 680A0B04
	v_lshlrev_b32_e32 v22, 2, v5                               // 000000002E28: 242C0A82
	s_mul_i32 s60, s7, 16                                      // 000000002E2C: 923C9007
	s_mul_i32 s60, s60, 4                                      // 000000002E30: 923C843C
	v_add_u32_e32 v22, s60, v22                                // 000000002E34: 682C2C3C
	s_mul_i32 s60, s2, 64                                      // 000000002E38: 923CC002
	s_mul_i32 s60, s60, 4                                      // 000000002E3C: 923C843C
	s_mul_i32 s61, s5, s74                                     // 000000002E40: 923D4A05
	s_add_u32 s61, s61, s60                                    // 000000002E44: 803D3C3D
	s_add_u32 s32, s61, s32                                    // 000000002E48: 8020203D
	s_addc_u32 s33, 0, s33                                     // 000000002E4C: 82212180
	s_mov_b32 s57, 0x80                                        // 000000002E50: BEB900FF 00000080
	s_mov_b32 s58, 0x800                                       // 000000002E58: BEBA00FF 00000800
	s_mov_b32 s83, s58                                         // 000000002E60: BED3003A
	s_mov_b32 s52, 0x7060302                                   // 000000002E64: BEB400FF 07060302
	s_mov_b32 s53, 0x400                                       // 000000002E6C: BEB500FF 00000400
	s_mov_b32 s54, 0x40100                                     // 000000002E74: BEB600FF 00040100
	s_mov_b32 s55, 0x4020100                                   // 000000002E7C: BEB700FF 04020100
	s_mov_b32 s6, 0x3fb8aa3b                                   // 000000002E84: BE8600FF 3FB8AA3B
	s_mov_b32 s78, 0xbd92220c                                  // 000000002E8C: BECE00FF BD92220C
	s_mov_b32 s79, 0xbd92220c                                  // 000000002E94: BECF00FF BD92220C
	s_mov_b32 m0, s48                                          // 000000002E9C: BEFC0030
	v_mov_b32_e32 v1, 0xbfcc4231                               // 000000002EA0: 7E0202FF BFCC4231
	v_mov_b32_e32 v17, 0xffff0000                              // 000000002EA8: 7E2202FF FFFF0000
	v_mov_b32_e32 v18, 0x7fff0000                              // 000000002EB0: 7E2402FF 7FFF0000
	v_mov_b32_e32 v19, 0x7fff                                  // 000000002EB8: 7E2602FF 00007FFF
	s_waitcnt vmcnt(0) expcnt(0) lgkmcnt(0)                    // 000000002EC0: BF8C0000
	v_lshrrev_b32_e32 v4, 5, v0                                // 000000002EC4: 20080085
	v_xor_b32_e32 v5, 1, v4                                    // 000000002EC8: 2A0A0881
	v_readlane_b32 s82, v3, 0                                  // 000000002ECC: D2890052 00010103
	s_and_b32 s82, s82, 0xffffff                               // 000000002ED4: 8652FF52 00FFFFFF
	v_mul_lo_u32 v6, v5, s82                                   // 000000002EDC: D2850006 0000A505
	v_readlane_b32 s82, v3, 1                                  // 000000002EE4: D2890052 00010303
	s_and_b32 s82, s82, 0xffffff                               // 000000002EEC: 8652FF52 00FFFFFF
	v_mul_lo_u32 v7, v4, s82                                   // 000000002EF4: D2850007 0000A504
	v_add_u32_e32 v42, v6, v7                                  // 000000002EFC: 68540F06
	v_mul_lo_u32 v42, v42, s68                                 // 000000002F00: D285002A 0000892A
	v_readlane_b32 s82, v3, 2                                  // 000000002F08: D2890052 00010503
	s_and_b32 s82, s82, 0xffffff                               // 000000002F10: 8652FF52 00FFFFFF
	v_mul_lo_u32 v6, v5, s82                                   // 000000002F18: D2850006 0000A505
	v_readlane_b32 s82, v3, 3                                  // 000000002F20: D2890052 00010703
	s_and_b32 s82, s82, 0xffffff                               // 000000002F28: 8652FF52 00FFFFFF
	v_mul_lo_u32 v7, v4, s82                                   // 000000002F30: D2850007 0000A504
	v_add_u32_e32 v43, v6, v7                                  // 000000002F38: 68560F06
	v_mul_lo_u32 v43, v43, s68                                 // 000000002F3C: D285002B 0000892B
	v_readlane_b32 s82, v3, 4                                  // 000000002F44: D2890052 00010903
	s_and_b32 s82, s82, 0xffffff                               // 000000002F4C: 8652FF52 00FFFFFF
	v_mul_lo_u32 v6, v5, s82                                   // 000000002F54: D2850006 0000A505
	v_readlane_b32 s82, v3, 5                                  // 000000002F5C: D2890052 00010B03
	s_and_b32 s82, s82, 0xffffff                               // 000000002F64: 8652FF52 00FFFFFF
	v_mul_lo_u32 v7, v4, s82                                   // 000000002F6C: D2850007 0000A504
	v_add_u32_e32 v44, v6, v7                                  // 000000002F74: 68580F06
	v_mul_lo_u32 v44, v44, s68                                 // 000000002F78: D285002C 0000892C
	v_readlane_b32 s82, v3, 6                                  // 000000002F80: D2890052 00010D03
	s_and_b32 s82, s82, 0xffffff                               // 000000002F88: 8652FF52 00FFFFFF
	v_mul_lo_u32 v6, v5, s82                                   // 000000002F90: D2850006 0000A505
	v_readlane_b32 s82, v3, 7                                  // 000000002F98: D2890052 00010F03
	s_and_b32 s82, s82, 0xffffff                               // 000000002FA0: 8652FF52 00FFFFFF
	v_mul_lo_u32 v7, v4, s82                                   // 000000002FA8: D2850007 0000A504
	v_add_u32_e32 v45, v6, v7                                  // 000000002FB0: 685A0F06
	v_mul_lo_u32 v45, v45, s68                                 // 000000002FB4: D285002D 0000892D
	v_readlane_b32 s82, v3, 8                                  // 000000002FBC: D2890052 00011103
	s_and_b32 s82, s82, 0xffffff                               // 000000002FC4: 8652FF52 00FFFFFF
	v_mul_lo_u32 v6, v5, s82                                   // 000000002FCC: D2850006 0000A505
	v_readlane_b32 s82, v3, 9                                  // 000000002FD4: D2890052 00011303
	s_and_b32 s82, s82, 0xffffff                               // 000000002FDC: 8652FF52 00FFFFFF
	v_mul_lo_u32 v7, v4, s82                                   // 000000002FE4: D2850007 0000A504
	v_add_u32_e32 v46, v6, v7                                  // 000000002FEC: 685C0F06
	v_mul_lo_u32 v46, v46, s68                                 // 000000002FF0: D285002E 0000892E
	v_readlane_b32 s82, v3, 10                                 // 000000002FF8: D2890052 00011503
	s_and_b32 s82, s82, 0xffffff                               // 000000003000: 8652FF52 00FFFFFF
	v_mul_lo_u32 v6, v5, s82                                   // 000000003008: D2850006 0000A505
	v_readlane_b32 s82, v3, 11                                 // 000000003010: D2890052 00011703
	s_and_b32 s82, s82, 0xffffff                               // 000000003018: 8652FF52 00FFFFFF
	v_mul_lo_u32 v7, v4, s82                                   // 000000003020: D2850007 0000A504
	v_add_u32_e32 v47, v6, v7                                  // 000000003028: 685E0F06
	v_mul_lo_u32 v47, v47, s68                                 // 00000000302C: D285002F 0000892F
	v_and_b32_e32 v4, 31, v0                                   // 000000003034: 2608009F
	v_lshlrev_b32_e32 v4, 2, v4                                // 000000003038: 24080882
	v_add_u32_e32 v42, v42, v4                                 // 00000000303C: 6854092A
	v_add_u32_e32 v43, v43, v4                                 // 000000003040: 6856092B
	v_add_u32_e32 v44, v44, v4                                 // 000000003044: 6858092C
	v_add_u32_e32 v45, v45, v4                                 // 000000003048: 685A092D
	v_add_u32_e32 v46, v46, v4                                 // 00000000304C: 685C092E
	v_add_u32_e32 v47, v47, v4                                 // 000000003050: 685E092F
	v_and_b32_e32 v30, 0xffffff, v30                           // 000000003054: 263C3CFF 00FFFFFF
	v_lshlrev_b32_e32 v30, 2, v30                              // 00000000305C: 243C3C82
	v_and_b32_e32 v31, 0xffffff, v31                           // 000000003060: 263E3EFF 00FFFFFF
	v_lshlrev_b32_e32 v31, 2, v31                              // 000000003068: 243E3E82
	v_and_b32_e32 v32, 0xffffff, v32                           // 00000000306C: 264040FF 00FFFFFF
	v_lshlrev_b32_e32 v32, 2, v32                              // 000000003074: 24404082
	s_lshl_b32 s3, s66, 2                                      // 000000003078: 8E038242
	buffer_load_dword v33, v30, s[28:31], 0 offen              // 00000000307C: E0501000 8007211E
	buffer_load_dword v34, v31, s[28:31], 0 offen              // 000000003084: E0501000 8007221F
	buffer_load_dword v35, v32, s[28:31], 0 offen              // 00000000308C: E0501000 80072320
	buffer_load_dword v24, v22, s[32:35], 0 offen              // 000000003094: E0501000 80081816
	s_mul_i32 s60, 4, s65                                      // 00000000309C: 923C4184
	s_add_u32 s32, s60, s32                                    // 0000000030A0: 8020203C
	s_addc_u32 s33, 0, s33                                     // 0000000030A4: 82212180
	buffer_load_dword v27, v22, s[32:35], 0 offen              // 0000000030A8: E0501000 80081B16
	buffer_load_dword v42, s[20:23], 0 offen lds               // 0000000030B0: E0511000 8005002A
	s_add_u32 m0, 0x100, s48                                   // 0000000030B8: 807C30FF 00000100
	buffer_load_dword v43, s[20:23], 0 offen lds               // 0000000030C0: E0511000 8005002B
	s_add_u32 m0, 0x200, s48                                   // 0000000030C8: 807C30FF 00000200
	buffer_load_dword v44, s[20:23], 0 offen lds               // 0000000030D0: E0511000 8005002C
	s_add_u32 m0, 0x300, s48                                   // 0000000030D8: 807C30FF 00000300
	buffer_load_dword v45, s[20:23], 0 offen lds               // 0000000030E0: E0511000 8005002D
	s_add_u32 m0, 0x400, s48                                   // 0000000030E8: 807C30FF 00000400
	buffer_load_dword v46, s[20:23], 0 offen lds               // 0000000030F0: E0511000 8005002E
	s_add_u32 m0, 0x500, s48                                   // 0000000030F8: 807C30FF 00000500
	buffer_load_dword v47, s[20:23], 0 offen lds               // 000000003100: E0511000 8005002F
	s_add_u32 m0, 0, s49                                       // 000000003108: 807C3180
	s_add_u32 s20, s57, s20                                    // 00000000310C: 80141439
	s_addc_u32 s21, 0, s21                                     // 000000003110: 82151580
	buffer_load_dwordx4 a[48:51], v48, s[24:27], 0 offen       // 000000003114: E05C1000 80863030
	buffer_load_dwordx4 a[52:55], v48, s[24:27], 0 offen offset:1024// 00000000311C: E05C1400 80863430
	s_add_u32 s24, s58, s24                                    // 000000003124: 8018183A
	s_addc_u32 s25, 0, s25                                     // 000000003128: 82191980
	buffer_load_dword v42, s[20:23], 0 offen lds               // 00000000312C: E0511000 8005002A
	s_add_u32 m0, 0x100, s49                                   // 000000003134: 807C31FF 00000100
	buffer_load_dword v43, s[20:23], 0 offen lds               // 00000000313C: E0511000 8005002B
	s_add_u32 m0, 0x200, s49                                   // 000000003144: 807C31FF 00000200
	buffer_load_dword v44, s[20:23], 0 offen lds               // 00000000314C: E0511000 8005002C
	s_add_u32 m0, 0x300, s49                                   // 000000003154: 807C31FF 00000300
	buffer_load_dword v45, s[20:23], 0 offen lds               // 00000000315C: E0511000 8005002D
	s_add_u32 m0, 0x400, s49                                   // 000000003164: 807C31FF 00000400
	buffer_load_dword v46, s[20:23], 0 offen lds               // 00000000316C: E0511000 8005002E
	s_add_u32 m0, 0x500, s49                                   // 000000003174: 807C31FF 00000500
	buffer_load_dword v47, s[20:23], 0 offen lds               // 00000000317C: E0511000 8005002F
	s_add_u32 m0, 0, s50                                       // 000000003184: 807C3280
	s_add_u32 s20, s57, s20                                    // 000000003188: 80141439
	s_addc_u32 s21, 0, s21                                     // 00000000318C: 82151580
	buffer_load_dwordx4 a[56:59], v48, s[84:87], 0 offen       // 000000003190: E05C1000 80953830
	buffer_load_dwordx4 a[60:63], v48, s[84:87], 0 offen offset:1024// 000000003198: E05C1400 80953C30
	s_add_u32 s84, s83, s84                                    // 0000000031A0: 80545453
	s_addc_u32 s85, 0, s85                                     // 0000000031A4: 82555580
	s_waitcnt vmcnt(10)                                        // 0000000031A8: BF8C0F7A
	s_barrier                                                  // 0000000031AC: BF8A0000
	ds_read_b128 a[0:3], v2                                    // 0000000031B0: DBFE0000 00000002
	ds_read_b128 a[4:7], v2 offset:64                          // 0000000031B8: DBFE0040 04000002
	ds_read_b128 a[8:11], v2 offset:512                        // 0000000031C0: DBFE0200 08000002
	ds_read_b128 a[12:15], v2 offset:576                       // 0000000031C8: DBFE0240 0C000002
	ds_read_b128 a[16:19], v2 offset:1024                      // 0000000031D0: DBFE0400 10000002
	ds_read_b128 a[20:23], v2 offset:1088                      // 0000000031D8: DBFE0440 14000002
	s_cmp_lt_i32 s7, 2                                         // 0000000031E0: BF048207
	s_cbranch_scc0 label_09F5                                  // 0000000031E4: BF8407F8

00000000000031e8 <label_01FA>:
	s_waitcnt vmcnt(8) lgkmcnt(0)                              // 0000000031E8: BF8C0078
	v_mfma_f32_16x16x32_fp8_fp8 v[52:55], a[48:49], a[0:1], v[52:55]// 0000000031EC: D3F30034 1CD20130
	v_mfma_f32_16x16x32_fp8_fp8 v[52:55], a[50:51], a[2:3], v[52:55]// 0000000031F4: D3F30034 1CD20532
	buffer_load_dwordx4 a[64:67], v48, s[24:27], 0 offen       // 0000000031FC: E05C1000 80864030
	v_mfma_f32_16x16x32_fp8_fp8 v[52:55], a[52:53], a[4:5], v[52:55]// 000000003204: D3F30034 1CD20934
	v_mfma_f32_16x16x32_fp8_fp8 v[52:55], a[54:55], a[6:7], v[52:55]// 00000000320C: D3F30034 1CD20D36
	v_mfma_f32_16x16x32_fp8_fp8 v[56:59], a[48:49], a[8:9], v[56:59]// 000000003214: D3F30038 1CE21130
	v_mfma_f32_16x16x32_fp8_fp8 v[56:59], a[50:51], a[10:11], v[56:59]// 00000000321C: D3F30038 1CE21532
	buffer_load_dwordx4 a[68:71], v48, s[24:27], 0 offen offset:1024// 000000003224: E05C1400 80864430
	buffer_load_dword v42, s[20:23], 0 offen lds               // 00000000322C: E0511000 8005002A
	s_add_u32 m0, 0x100, s50                                   // 000000003234: 807C32FF 00000100
	v_mfma_f32_16x16x32_fp8_fp8 v[56:59], a[52:53], a[12:13], v[56:59]// 00000000323C: D3F30038 1CE21934
	v_mfma_f32_16x16x32_fp8_fp8 v[56:59], a[54:55], a[14:15], v[56:59]// 000000003244: D3F30038 1CE21D36
	buffer_load_dword v43, s[20:23], 0 offen lds               // 00000000324C: E0511000 8005002B
	s_add_u32 m0, 0x200, s50                                   // 000000003254: 807C32FF 00000200
	v_mfma_f32_16x16x32_fp8_fp8 v[60:63], a[48:49], a[16:17], v[60:63]// 00000000325C: D3F3003C 1CF22130
	v_mfma_f32_16x16x32_fp8_fp8 v[60:63], a[50:51], a[18:19], v[60:63]// 000000003264: D3F3003C 1CF22532
	buffer_load_dword v44, s[20:23], 0 offen lds               // 00000000326C: E0511000 8005002C
	s_add_u32 m0, 0x300, s50                                   // 000000003274: 807C32FF 00000300
	v_mfma_f32_16x16x32_fp8_fp8 v[60:63], a[52:53], a[20:21], v[60:63]// 00000000327C: D3F3003C 1CF22934
	v_mfma_f32_16x16x32_fp8_fp8 v[60:63], a[54:55], a[22:23], v[60:63]// 000000003284: D3F3003C 1CF22D36
	buffer_load_dword v45, s[20:23], 0 offen lds               // 00000000328C: E0511000 8005002D
	s_add_u32 m0, 0x400, s50                                   // 000000003294: 807C32FF 00000400
	buffer_load_dword v46, s[20:23], 0 offen lds               // 00000000329C: E0511000 8005002E
	s_add_u32 m0, 0x500, s50                                   // 0000000032A4: 807C32FF 00000500
	buffer_load_dword v47, s[20:23], 0 offen lds               // 0000000032AC: E0511000 8005002F
	s_add_u32 m0, 0, s48                                       // 0000000032B4: 807C3080
	s_waitcnt vmcnt(8)                                         // 0000000032B8: BF8C0F78
	s_barrier                                                  // 0000000032BC: BF8A0000
	v_mfma_f32_16x16x32_fp8_fp8 v[64:67], a[56:57], a[0:1], v[64:67]// 0000000032C0: D3F30040 1D020138
	v_mfma_f32_16x16x32_fp8_fp8 v[64:67], a[58:59], a[2:3], v[64:67]// 0000000032C8: D3F30040 1D02053A
	buffer_load_dwordx4 a[48:51], v48, s[84:87], 0 offen       // 0000000032D0: E05C1000 80953030
	v_mfma_f32_16x16x32_fp8_fp8 v[64:67], a[60:61], a[4:5], v[64:67]// 0000000032D8: D3F30040 1D02093C
	v_mfma_f32_16x16x32_fp8_fp8 v[64:67], a[62:63], a[6:7], v[64:67]// 0000000032E0: D3F30040 1D020D3E
	ds_read_b128 a[24:27], v2 offset:6272                      // 0000000032E8: DBFE1880 18000002
	ds_read_b128 a[28:31], v2 offset:6336                      // 0000000032F0: DBFE18C0 1C000002
	v_mfma_f32_16x16x32_fp8_fp8 v[68:71], a[56:57], a[8:9], v[68:71]// 0000000032F8: D3F30044 1D121138
	s_add_u32 s60, 0x180, s80                                  // 000000003300: 803C50FF 00000180
	s_cmp_lt_u32 s60, s81                                      // 000000003308: BF0A513C
	s_cselect_b32 s57, s57, 0                                  // 00000000330C: 85398039
	v_mfma_f32_16x16x32_fp8_fp8 v[68:71], a[58:59], a[10:11], v[68:71]// 000000003310: D3F30044 1D12153A
	buffer_load_dwordx4 a[52:55], v48, s[84:87], 0 offen offset:1024// 000000003318: E05C1400 80953430
	s_add_u32 s60, 0x100, s80                                  // 000000003320: 803C50FF 00000100
	s_cmp_lt_u32 s60, s81                                      // 000000003328: BF0A513C
	s_cselect_b32 s58, s58, 0                                  // 00000000332C: 853A803A
	v_mfma_f32_16x16x32_fp8_fp8 v[68:71], a[60:61], a[12:13], v[68:71]// 000000003330: D3F30044 1D12193C
	s_add_u32 s60, 0x100, s80                                  // 000000003338: 803C50FF 00000100
	s_cmp_lt_u32 s60, s81                                      // 000000003340: BF0A513C
	s_cselect_b32 s83, s83, 0                                  // 000000003344: 85538053
	v_mfma_f32_16x16x32_fp8_fp8 v[68:71], a[62:63], a[14:15], v[68:71]// 000000003348: D3F30044 1D121D3E
	ds_read_b128 a[32:35], v2 offset:6784                      // 000000003350: DBFE1A80 20000002
	ds_read_b128 a[36:39], v2 offset:6848                      // 000000003358: DBFE1AC0 24000002
	s_add_u32 s24, s58, s24                                    // 000000003360: 8018183A
	s_addc_u32 s25, 0, s25                                     // 000000003364: 82191980
	v_mfma_f32_16x16x32_fp8_fp8 v[72:75], a[56:57], a[16:17], v[72:75]// 000000003368: D3F30048 1D222138
	s_add_u32 s20, s57, s20                                    // 000000003370: 80141439
	s_addc_u32 s21, 0, s21                                     // 000000003374: 82151580
	v_mfma_f32_16x16x32_fp8_fp8 v[72:75], a[58:59], a[18:19], v[72:75]// 000000003378: D3F30048 1D22253A
	s_add_u32 s84, s83, s84                                    // 000000003380: 80545453
	s_addc_u32 s85, 0, s85                                     // 000000003384: 82555580
	v_mfma_f32_16x16x32_fp8_fp8 v[72:75], a[60:61], a[20:21], v[72:75]// 000000003388: D3F30048 1D22293C
	v_mfma_f32_16x16x32_fp8_fp8 v[72:75], a[62:63], a[22:23], v[72:75]// 000000003390: D3F30048 1D222D3E
	ds_read_b128 a[40:43], v2 offset:7296                      // 000000003398: DBFE1C80 28000002
	ds_read_b128 a[44:47], v2 offset:7360                      // 0000000033A0: DBFE1CC0 2C000002
	s_addk_i32 s80, 0x80                                       // 0000000033A8: B7500080
	s_cmp_lt_i32 s80, s81                                      // 0000000033AC: BF045150
	s_cbranch_scc0 label_04AD                                  // 0000000033B0: BF840240
	s_waitcnt vmcnt(8) lgkmcnt(0)                              // 0000000033B4: BF8C0078
	v_mfma_f32_16x16x32_fp8_fp8 v[52:55], a[64:65], a[24:25], v[52:55]// 0000000033B8: D3F30034 1CD23140
	v_mfma_f32_16x16x32_fp8_fp8 v[52:55], a[66:67], a[26:27], v[52:55]// 0000000033C0: D3F30034 1CD23542
	buffer_load_dwordx4 a[56:59], v48, s[24:27], 0 offen       // 0000000033C8: E05C1000 80863830
	v_mfma_f32_16x16x32_fp8_fp8 v[52:55], a[68:69], a[28:29], v[52:55]// 0000000033D0: D3F30034 1CD23944
	v_mfma_f32_16x16x32_fp8_fp8 v[52:55], a[70:71], a[30:31], v[52:55]// 0000000033D8: D3F30034 1CD23D46
	v_mfma_f32_16x16x32_fp8_fp8 v[56:59], a[64:65], a[32:33], v[56:59]// 0000000033E0: D3F30038 1CE24140
	v_mfma_f32_16x16x32_fp8_fp8 v[56:59], a[66:67], a[34:35], v[56:59]// 0000000033E8: D3F30038 1CE24542
	buffer_load_dwordx4 a[60:63], v48, s[24:27], 0 offen offset:1024// 0000000033F0: E05C1400 80863C30
	buffer_load_dword v42, s[20:23], 0 offen lds               // 0000000033F8: E0511000 8005002A
	s_add_u32 m0, 0x100, s48                                   // 000000003400: 807C30FF 00000100
	v_mfma_f32_16x16x32_fp8_fp8 v[56:59], a[68:69], a[36:37], v[56:59]// 000000003408: D3F30038 1CE24944
	v_mfma_f32_16x16x32_fp8_fp8 v[56:59], a[70:71], a[38:39], v[56:59]// 000000003410: D3F30038 1CE24D46
	buffer_load_dword v43, s[20:23], 0 offen lds               // 000000003418: E0511000 8005002B
	s_add_u32 m0, 0x200, s48                                   // 000000003420: 807C30FF 00000200
	v_mfma_f32_16x16x32_fp8_fp8 v[60:63], a[64:65], a[40:41], v[60:63]// 000000003428: D3F3003C 1CF25140
	v_mfma_f32_16x16x32_fp8_fp8 v[60:63], a[66:67], a[42:43], v[60:63]// 000000003430: D3F3003C 1CF25542
	buffer_load_dword v44, s[20:23], 0 offen lds               // 000000003438: E0511000 8005002C
	s_add_u32 m0, 0x300, s48                                   // 000000003440: 807C30FF 00000300
	v_mfma_f32_16x16x32_fp8_fp8 v[60:63], a[68:69], a[44:45], v[60:63]// 000000003448: D3F3003C 1CF25944
	v_mfma_f32_16x16x32_fp8_fp8 v[60:63], a[70:71], a[46:47], v[60:63]// 000000003450: D3F3003C 1CF25D46
	buffer_load_dword v45, s[20:23], 0 offen lds               // 000000003458: E0511000 8005002D
	s_add_u32 m0, 0x400, s48                                   // 000000003460: 807C30FF 00000400
	buffer_load_dword v46, s[20:23], 0 offen lds               // 000000003468: E0511000 8005002E
	s_add_u32 m0, 0x500, s48                                   // 000000003470: 807C30FF 00000500
	buffer_load_dword v47, s[20:23], 0 offen lds               // 000000003478: E0511000 8005002F
	s_add_u32 m0, 0, s49                                       // 000000003480: 807C3180
	s_waitcnt vmcnt(8)                                         // 000000003484: BF8C0F78
	s_barrier                                                  // 000000003488: BF8A0000
	v_mfma_f32_16x16x32_fp8_fp8 v[64:67], a[48:49], a[24:25], v[64:67]// 00000000348C: D3F30040 1D023130
	v_mfma_f32_16x16x32_fp8_fp8 v[64:67], a[50:51], a[26:27], v[64:67]// 000000003494: D3F30040 1D023532
	buffer_load_dwordx4 a[64:67], v48, s[84:87], 0 offen       // 00000000349C: E05C1000 80954030
	v_mfma_f32_16x16x32_fp8_fp8 v[64:67], a[52:53], a[28:29], v[64:67]// 0000000034A4: D3F30040 1D023934
	v_mfma_f32_16x16x32_fp8_fp8 v[64:67], a[54:55], a[30:31], v[64:67]// 0000000034AC: D3F30040 1D023D36
	ds_read_b128 a[0:3], v2 offset:12544                       // 0000000034B4: DBFE3100 00000002
	ds_read_b128 a[4:7], v2 offset:12608                       // 0000000034BC: DBFE3140 04000002
	v_mfma_f32_16x16x32_fp8_fp8 v[68:71], a[48:49], a[32:33], v[68:71]// 0000000034C4: D3F30044 1D124130
	s_add_u32 s60, 0x180, s80                                  // 0000000034CC: 803C50FF 00000180
	s_cmp_lt_u32 s60, s81                                      // 0000000034D4: BF0A513C
	s_cselect_b32 s57, s57, 0                                  // 0000000034D8: 85398039
	v_mfma_f32_16x16x32_fp8_fp8 v[68:71], a[50:51], a[34:35], v[68:71]// 0000000034DC: D3F30044 1D124532
	buffer_load_dwordx4 a[68:71], v48, s[84:87], 0 offen offset:1024// 0000000034E4: E05C1400 80954430
	s_add_u32 s60, 0x100, s80                                  // 0000000034EC: 803C50FF 00000100
	s_cmp_lt_u32 s60, s81                                      // 0000000034F4: BF0A513C
	s_cselect_b32 s58, s58, 0                                  // 0000000034F8: 853A803A
	v_mfma_f32_16x16x32_fp8_fp8 v[68:71], a[52:53], a[36:37], v[68:71]// 0000000034FC: D3F30044 1D124934
	s_add_u32 s60, 0x100, s80                                  // 000000003504: 803C50FF 00000100
	s_cmp_lt_u32 s60, s81                                      // 00000000350C: BF0A513C
	s_cselect_b32 s83, s83, 0                                  // 000000003510: 85538053
	v_mfma_f32_16x16x32_fp8_fp8 v[68:71], a[54:55], a[38:39], v[68:71]// 000000003514: D3F30044 1D124D36
	ds_read_b128 a[8:11], v2 offset:13056                      // 00000000351C: DBFE3300 08000002
	ds_read_b128 a[12:15], v2 offset:13120                     // 000000003524: DBFE3340 0C000002
	s_add_u32 s24, s58, s24                                    // 00000000352C: 8018183A
	s_addc_u32 s25, 0, s25                                     // 000000003530: 82191980
	v_mfma_f32_16x16x32_fp8_fp8 v[72:75], a[48:49], a[40:41], v[72:75]// 000000003534: D3F30048 1D225130
	s_add_u32 s20, s57, s20                                    // 00000000353C: 80141439
	s_addc_u32 s21, 0, s21                                     // 000000003540: 82151580
	v_mfma_f32_16x16x32_fp8_fp8 v[72:75], a[50:51], a[42:43], v[72:75]// 000000003544: D3F30048 1D225532
	s_add_u32 s84, s83, s84                                    // 00000000354C: 80545453
	s_addc_u32 s85, 0, s85                                     // 000000003550: 82555580
	v_mfma_f32_16x16x32_fp8_fp8 v[72:75], a[52:53], a[44:45], v[72:75]// 000000003554: D3F30048 1D225934
	v_mfma_f32_16x16x32_fp8_fp8 v[72:75], a[54:55], a[46:47], v[72:75]// 00000000355C: D3F30048 1D225D36
	ds_read_b128 a[16:19], v2 offset:13568                     // 000000003564: DBFE3500 10000002
	ds_read_b128 a[20:23], v2 offset:13632                     // 00000000356C: DBFE3540 14000002
	s_addk_i32 s80, 0x80                                       // 000000003574: B7500080
	s_cmp_lt_i32 s80, s81                                      // 000000003578: BF045150
	s_cbranch_scc0 label_04AD                                  // 00000000357C: BF8401CD
	s_waitcnt vmcnt(8) lgkmcnt(0)                              // 000000003580: BF8C0078
	v_mfma_f32_16x16x32_fp8_fp8 v[52:55], a[56:57], a[0:1], v[52:55]// 000000003584: D3F30034 1CD20138
	v_mfma_f32_16x16x32_fp8_fp8 v[52:55], a[58:59], a[2:3], v[52:55]// 00000000358C: D3F30034 1CD2053A
	buffer_load_dwordx4 a[48:51], v48, s[24:27], 0 offen       // 000000003594: E05C1000 80863030
	v_mfma_f32_16x16x32_fp8_fp8 v[52:55], a[60:61], a[4:5], v[52:55]// 00000000359C: D3F30034 1CD2093C
	v_mfma_f32_16x16x32_fp8_fp8 v[52:55], a[62:63], a[6:7], v[52:55]// 0000000035A4: D3F30034 1CD20D3E
	v_mfma_f32_16x16x32_fp8_fp8 v[56:59], a[56:57], a[8:9], v[56:59]// 0000000035AC: D3F30038 1CE21138
	v_mfma_f32_16x16x32_fp8_fp8 v[56:59], a[58:59], a[10:11], v[56:59]// 0000000035B4: D3F30038 1CE2153A
	buffer_load_dwordx4 a[52:55], v48, s[24:27], 0 offen offset:1024// 0000000035BC: E05C1400 80863430
	buffer_load_dword v42, s[20:23], 0 offen lds               // 0000000035C4: E0511000 8005002A
	s_add_u32 m0, 0x100, s49                                   // 0000000035CC: 807C31FF 00000100
	v_mfma_f32_16x16x32_fp8_fp8 v[56:59], a[60:61], a[12:13], v[56:59]// 0000000035D4: D3F30038 1CE2193C
	v_mfma_f32_16x16x32_fp8_fp8 v[56:59], a[62:63], a[14:15], v[56:59]// 0000000035DC: D3F30038 1CE21D3E
	buffer_load_dword v43, s[20:23], 0 offen lds               // 0000000035E4: E0511000 8005002B
	s_add_u32 m0, 0x200, s49                                   // 0000000035EC: 807C31FF 00000200
	v_mfma_f32_16x16x32_fp8_fp8 v[60:63], a[56:57], a[16:17], v[60:63]// 0000000035F4: D3F3003C 1CF22138
	v_mfma_f32_16x16x32_fp8_fp8 v[60:63], a[58:59], a[18:19], v[60:63]// 0000000035FC: D3F3003C 1CF2253A
	buffer_load_dword v44, s[20:23], 0 offen lds               // 000000003604: E0511000 8005002C
	s_add_u32 m0, 0x300, s49                                   // 00000000360C: 807C31FF 00000300
	v_mfma_f32_16x16x32_fp8_fp8 v[60:63], a[60:61], a[20:21], v[60:63]// 000000003614: D3F3003C 1CF2293C
	v_mfma_f32_16x16x32_fp8_fp8 v[60:63], a[62:63], a[22:23], v[60:63]// 00000000361C: D3F3003C 1CF22D3E
	buffer_load_dword v45, s[20:23], 0 offen lds               // 000000003624: E0511000 8005002D
	s_add_u32 m0, 0x400, s49                                   // 00000000362C: 807C31FF 00000400
	buffer_load_dword v46, s[20:23], 0 offen lds               // 000000003634: E0511000 8005002E
	s_add_u32 m0, 0x500, s49                                   // 00000000363C: 807C31FF 00000500
	buffer_load_dword v47, s[20:23], 0 offen lds               // 000000003644: E0511000 8005002F
	s_add_u32 m0, 0, s50                                       // 00000000364C: 807C3280
	s_waitcnt vmcnt(8)                                         // 000000003650: BF8C0F78
	s_barrier                                                  // 000000003654: BF8A0000
	v_mfma_f32_16x16x32_fp8_fp8 v[64:67], a[64:65], a[0:1], v[64:67]// 000000003658: D3F30040 1D020140
	v_mfma_f32_16x16x32_fp8_fp8 v[64:67], a[66:67], a[2:3], v[64:67]// 000000003660: D3F30040 1D020542
	buffer_load_dwordx4 a[56:59], v48, s[84:87], 0 offen       // 000000003668: E05C1000 80953830
	v_mfma_f32_16x16x32_fp8_fp8 v[64:67], a[68:69], a[4:5], v[64:67]// 000000003670: D3F30040 1D020944
	v_mfma_f32_16x16x32_fp8_fp8 v[64:67], a[70:71], a[6:7], v[64:67]// 000000003678: D3F30040 1D020D46
	ds_read_b128 a[24:27], v2                                  // 000000003680: DBFE0000 18000002
	ds_read_b128 a[28:31], v2 offset:64                        // 000000003688: DBFE0040 1C000002
	v_mfma_f32_16x16x32_fp8_fp8 v[68:71], a[64:65], a[8:9], v[68:71]// 000000003690: D3F30044 1D121140
	s_add_u32 s60, 0x180, s80                                  // 000000003698: 803C50FF 00000180
	s_cmp_lt_u32 s60, s81                                      // 0000000036A0: BF0A513C
	s_cselect_b32 s57, s57, 0                                  // 0000000036A4: 85398039
	v_mfma_f32_16x16x32_fp8_fp8 v[68:71], a[66:67], a[10:11], v[68:71]// 0000000036A8: D3F30044 1D121542
	buffer_load_dwordx4 a[60:63], v48, s[84:87], 0 offen offset:1024// 0000000036B0: E05C1400 80953C30
	s_add_u32 s60, 0x100, s80                                  // 0000000036B8: 803C50FF 00000100
	s_cmp_lt_u32 s60, s81                                      // 0000000036C0: BF0A513C
	s_cselect_b32 s58, s58, 0                                  // 0000000036C4: 853A803A
	v_mfma_f32_16x16x32_fp8_fp8 v[68:71], a[68:69], a[12:13], v[68:71]// 0000000036C8: D3F30044 1D121944
	s_add_u32 s60, 0x100, s80                                  // 0000000036D0: 803C50FF 00000100
	s_cmp_lt_u32 s60, s81                                      // 0000000036D8: BF0A513C
	s_cselect_b32 s83, s83, 0                                  // 0000000036DC: 85538053
	v_mfma_f32_16x16x32_fp8_fp8 v[68:71], a[70:71], a[14:15], v[68:71]// 0000000036E0: D3F30044 1D121D46
	ds_read_b128 a[32:35], v2 offset:512                       // 0000000036E8: DBFE0200 20000002
	ds_read_b128 a[36:39], v2 offset:576                       // 0000000036F0: DBFE0240 24000002
	s_add_u32 s24, s58, s24                                    // 0000000036F8: 8018183A
	s_addc_u32 s25, 0, s25                                     // 0000000036FC: 82191980
	v_mfma_f32_16x16x32_fp8_fp8 v[72:75], a[64:65], a[16:17], v[72:75]// 000000003700: D3F30048 1D222140
	s_add_u32 s20, s57, s20                                    // 000000003708: 80141439
	s_addc_u32 s21, 0, s21                                     // 00000000370C: 82151580
	v_mfma_f32_16x16x32_fp8_fp8 v[72:75], a[66:67], a[18:19], v[72:75]// 000000003710: D3F30048 1D222542
	s_add_u32 s84, s83, s84                                    // 000000003718: 80545453
	s_addc_u32 s85, 0, s85                                     // 00000000371C: 82555580
	v_mfma_f32_16x16x32_fp8_fp8 v[72:75], a[68:69], a[20:21], v[72:75]// 000000003720: D3F30048 1D222944
	v_mfma_f32_16x16x32_fp8_fp8 v[72:75], a[70:71], a[22:23], v[72:75]// 000000003728: D3F30048 1D222D46
	ds_read_b128 a[40:43], v2 offset:1024                      // 000000003730: DBFE0400 28000002
	ds_read_b128 a[44:47], v2 offset:1088                      // 000000003738: DBFE0440 2C000002
	s_addk_i32 s80, 0x80                                       // 000000003740: B7500080
	s_cmp_lt_i32 s80, s81                                      // 000000003744: BF045150
	s_cbranch_scc0 label_04AD                                  // 000000003748: BF84015A
	s_waitcnt vmcnt(8) lgkmcnt(0)                              // 00000000374C: BF8C0078
	v_mfma_f32_16x16x32_fp8_fp8 v[52:55], a[48:49], a[24:25], v[52:55]// 000000003750: D3F30034 1CD23130
	v_mfma_f32_16x16x32_fp8_fp8 v[52:55], a[50:51], a[26:27], v[52:55]// 000000003758: D3F30034 1CD23532
	buffer_load_dwordx4 a[64:67], v48, s[24:27], 0 offen       // 000000003760: E05C1000 80864030
	v_mfma_f32_16x16x32_fp8_fp8 v[52:55], a[52:53], a[28:29], v[52:55]// 000000003768: D3F30034 1CD23934
	v_mfma_f32_16x16x32_fp8_fp8 v[52:55], a[54:55], a[30:31], v[52:55]// 000000003770: D3F30034 1CD23D36
	v_mfma_f32_16x16x32_fp8_fp8 v[56:59], a[48:49], a[32:33], v[56:59]// 000000003778: D3F30038 1CE24130
	v_mfma_f32_16x16x32_fp8_fp8 v[56:59], a[50:51], a[34:35], v[56:59]// 000000003780: D3F30038 1CE24532
	buffer_load_dwordx4 a[68:71], v48, s[24:27], 0 offen offset:1024// 000000003788: E05C1400 80864430
	buffer_load_dword v42, s[20:23], 0 offen lds               // 000000003790: E0511000 8005002A
	s_add_u32 m0, 0x100, s50                                   // 000000003798: 807C32FF 00000100
	v_mfma_f32_16x16x32_fp8_fp8 v[56:59], a[52:53], a[36:37], v[56:59]// 0000000037A0: D3F30038 1CE24934
	v_mfma_f32_16x16x32_fp8_fp8 v[56:59], a[54:55], a[38:39], v[56:59]// 0000000037A8: D3F30038 1CE24D36
	buffer_load_dword v43, s[20:23], 0 offen lds               // 0000000037B0: E0511000 8005002B
	s_add_u32 m0, 0x200, s50                                   // 0000000037B8: 807C32FF 00000200
	v_mfma_f32_16x16x32_fp8_fp8 v[60:63], a[48:49], a[40:41], v[60:63]// 0000000037C0: D3F3003C 1CF25130
	v_mfma_f32_16x16x32_fp8_fp8 v[60:63], a[50:51], a[42:43], v[60:63]// 0000000037C8: D3F3003C 1CF25532
	buffer_load_dword v44, s[20:23], 0 offen lds               // 0000000037D0: E0511000 8005002C
	s_add_u32 m0, 0x300, s50                                   // 0000000037D8: 807C32FF 00000300
	v_mfma_f32_16x16x32_fp8_fp8 v[60:63], a[52:53], a[44:45], v[60:63]// 0000000037E0: D3F3003C 1CF25934
	v_mfma_f32_16x16x32_fp8_fp8 v[60:63], a[54:55], a[46:47], v[60:63]// 0000000037E8: D3F3003C 1CF25D36
	buffer_load_dword v45, s[20:23], 0 offen lds               // 0000000037F0: E0511000 8005002D
	s_add_u32 m0, 0x400, s50                                   // 0000000037F8: 807C32FF 00000400
	buffer_load_dword v46, s[20:23], 0 offen lds               // 000000003800: E0511000 8005002E
	s_add_u32 m0, 0x500, s50                                   // 000000003808: 807C32FF 00000500
	buffer_load_dword v47, s[20:23], 0 offen lds               // 000000003810: E0511000 8005002F
	s_add_u32 m0, 0, s48                                       // 000000003818: 807C3080
	s_waitcnt vmcnt(8)                                         // 00000000381C: BF8C0F78
	s_barrier                                                  // 000000003820: BF8A0000
	v_mfma_f32_16x16x32_fp8_fp8 v[64:67], a[56:57], a[24:25], v[64:67]// 000000003824: D3F30040 1D023138
	v_mfma_f32_16x16x32_fp8_fp8 v[64:67], a[58:59], a[26:27], v[64:67]// 00000000382C: D3F30040 1D02353A
	buffer_load_dwordx4 a[48:51], v48, s[84:87], 0 offen       // 000000003834: E05C1000 80953030
	v_mfma_f32_16x16x32_fp8_fp8 v[64:67], a[60:61], a[28:29], v[64:67]// 00000000383C: D3F30040 1D02393C
	v_mfma_f32_16x16x32_fp8_fp8 v[64:67], a[62:63], a[30:31], v[64:67]// 000000003844: D3F30040 1D023D3E
	ds_read_b128 a[0:3], v2 offset:6272                        // 00000000384C: DBFE1880 00000002
	ds_read_b128 a[4:7], v2 offset:6336                        // 000000003854: DBFE18C0 04000002
	v_mfma_f32_16x16x32_fp8_fp8 v[68:71], a[56:57], a[32:33], v[68:71]// 00000000385C: D3F30044 1D124138
	s_add_u32 s60, 0x180, s80                                  // 000000003864: 803C50FF 00000180
	s_cmp_lt_u32 s60, s81                                      // 00000000386C: BF0A513C
	s_cselect_b32 s57, s57, 0                                  // 000000003870: 85398039
	v_mfma_f32_16x16x32_fp8_fp8 v[68:71], a[58:59], a[34:35], v[68:71]// 000000003874: D3F30044 1D12453A
	buffer_load_dwordx4 a[52:55], v48, s[84:87], 0 offen offset:1024// 00000000387C: E05C1400 80953430
	s_add_u32 s60, 0x100, s80                                  // 000000003884: 803C50FF 00000100
	s_cmp_lt_u32 s60, s81                                      // 00000000388C: BF0A513C
	s_cselect_b32 s58, s58, 0                                  // 000000003890: 853A803A
	v_mfma_f32_16x16x32_fp8_fp8 v[68:71], a[60:61], a[36:37], v[68:71]// 000000003894: D3F30044 1D12493C
	s_add_u32 s60, 0x100, s80                                  // 00000000389C: 803C50FF 00000100
	s_cmp_lt_u32 s60, s81                                      // 0000000038A4: BF0A513C
	s_cselect_b32 s83, s83, 0                                  // 0000000038A8: 85538053
	v_mfma_f32_16x16x32_fp8_fp8 v[68:71], a[62:63], a[38:39], v[68:71]// 0000000038AC: D3F30044 1D124D3E
	ds_read_b128 a[8:11], v2 offset:6784                       // 0000000038B4: DBFE1A80 08000002
	ds_read_b128 a[12:15], v2 offset:6848                      // 0000000038BC: DBFE1AC0 0C000002
	s_add_u32 s24, s58, s24                                    // 0000000038C4: 8018183A
	s_addc_u32 s25, 0, s25                                     // 0000000038C8: 82191980
	v_mfma_f32_16x16x32_fp8_fp8 v[72:75], a[56:57], a[40:41], v[72:75]// 0000000038CC: D3F30048 1D225138
	s_add_u32 s20, s57, s20                                    // 0000000038D4: 80141439
	s_addc_u32 s21, 0, s21                                     // 0000000038D8: 82151580
	v_mfma_f32_16x16x32_fp8_fp8 v[72:75], a[58:59], a[42:43], v[72:75]// 0000000038DC: D3F30048 1D22553A
	s_add_u32 s84, s83, s84                                    // 0000000038E4: 80545453
	s_addc_u32 s85, 0, s85                                     // 0000000038E8: 82555580
	v_mfma_f32_16x16x32_fp8_fp8 v[72:75], a[60:61], a[44:45], v[72:75]// 0000000038EC: D3F30048 1D22593C
	v_mfma_f32_16x16x32_fp8_fp8 v[72:75], a[62:63], a[46:47], v[72:75]// 0000000038F4: D3F30048 1D225D3E
	ds_read_b128 a[16:19], v2 offset:7296                      // 0000000038FC: DBFE1C80 10000002
	ds_read_b128 a[20:23], v2 offset:7360                      // 000000003904: DBFE1CC0 14000002
	s_addk_i32 s80, 0x80                                       // 00000000390C: B7500080
	s_cmp_lt_i32 s80, s81                                      // 000000003910: BF045150
	s_cbranch_scc0 label_04AD                                  // 000000003914: BF8400E7
	s_waitcnt vmcnt(8) lgkmcnt(0)                              // 000000003918: BF8C0078
	v_mfma_f32_16x16x32_fp8_fp8 v[52:55], a[64:65], a[0:1], v[52:55]// 00000000391C: D3F30034 1CD20140
	v_mfma_f32_16x16x32_fp8_fp8 v[52:55], a[66:67], a[2:3], v[52:55]// 000000003924: D3F30034 1CD20542
	buffer_load_dwordx4 a[56:59], v48, s[24:27], 0 offen       // 00000000392C: E05C1000 80863830
	v_mfma_f32_16x16x32_fp8_fp8 v[52:55], a[68:69], a[4:5], v[52:55]// 000000003934: D3F30034 1CD20944
	v_mfma_f32_16x16x32_fp8_fp8 v[52:55], a[70:71], a[6:7], v[52:55]// 00000000393C: D3F30034 1CD20D46
	v_mfma_f32_16x16x32_fp8_fp8 v[56:59], a[64:65], a[8:9], v[56:59]// 000000003944: D3F30038 1CE21140
	v_mfma_f32_16x16x32_fp8_fp8 v[56:59], a[66:67], a[10:11], v[56:59]// 00000000394C: D3F30038 1CE21542
	buffer_load_dwordx4 a[60:63], v48, s[24:27], 0 offen offset:1024// 000000003954: E05C1400 80863C30
	buffer_load_dword v42, s[20:23], 0 offen lds               // 00000000395C: E0511000 8005002A
	s_add_u32 m0, 0x100, s48                                   // 000000003964: 807C30FF 00000100
	v_mfma_f32_16x16x32_fp8_fp8 v[56:59], a[68:69], a[12:13], v[56:59]// 00000000396C: D3F30038 1CE21944
	v_mfma_f32_16x16x32_fp8_fp8 v[56:59], a[70:71], a[14:15], v[56:59]// 000000003974: D3F30038 1CE21D46
	buffer_load_dword v43, s[20:23], 0 offen lds               // 00000000397C: E0511000 8005002B
	s_add_u32 m0, 0x200, s48                                   // 000000003984: 807C30FF 00000200
	v_mfma_f32_16x16x32_fp8_fp8 v[60:63], a[64:65], a[16:17], v[60:63]// 00000000398C: D3F3003C 1CF22140
	v_mfma_f32_16x16x32_fp8_fp8 v[60:63], a[66:67], a[18:19], v[60:63]// 000000003994: D3F3003C 1CF22542
	buffer_load_dword v44, s[20:23], 0 offen lds               // 00000000399C: E0511000 8005002C
	s_add_u32 m0, 0x300, s48                                   // 0000000039A4: 807C30FF 00000300
	v_mfma_f32_16x16x32_fp8_fp8 v[60:63], a[68:69], a[20:21], v[60:63]// 0000000039AC: D3F3003C 1CF22944
	v_mfma_f32_16x16x32_fp8_fp8 v[60:63], a[70:71], a[22:23], v[60:63]// 0000000039B4: D3F3003C 1CF22D46
	buffer_load_dword v45, s[20:23], 0 offen lds               // 0000000039BC: E0511000 8005002D
	s_add_u32 m0, 0x400, s48                                   // 0000000039C4: 807C30FF 00000400
	buffer_load_dword v46, s[20:23], 0 offen lds               // 0000000039CC: E0511000 8005002E
	s_add_u32 m0, 0x500, s48                                   // 0000000039D4: 807C30FF 00000500
	buffer_load_dword v47, s[20:23], 0 offen lds               // 0000000039DC: E0511000 8005002F
	s_add_u32 m0, 0, s49                                       // 0000000039E4: 807C3180
	s_waitcnt vmcnt(8)                                         // 0000000039E8: BF8C0F78
	s_barrier                                                  // 0000000039EC: BF8A0000
	v_mfma_f32_16x16x32_fp8_fp8 v[64:67], a[48:49], a[0:1], v[64:67]// 0000000039F0: D3F30040 1D020130
	v_mfma_f32_16x16x32_fp8_fp8 v[64:67], a[50:51], a[2:3], v[64:67]// 0000000039F8: D3F30040 1D020532
	buffer_load_dwordx4 a[64:67], v48, s[84:87], 0 offen       // 000000003A00: E05C1000 80954030
	v_mfma_f32_16x16x32_fp8_fp8 v[64:67], a[52:53], a[4:5], v[64:67]// 000000003A08: D3F30040 1D020934
	v_mfma_f32_16x16x32_fp8_fp8 v[64:67], a[54:55], a[6:7], v[64:67]// 000000003A10: D3F30040 1D020D36
	ds_read_b128 a[24:27], v2 offset:12544                     // 000000003A18: DBFE3100 18000002
	ds_read_b128 a[28:31], v2 offset:12608                     // 000000003A20: DBFE3140 1C000002
	v_mfma_f32_16x16x32_fp8_fp8 v[68:71], a[48:49], a[8:9], v[68:71]// 000000003A28: D3F30044 1D121130
	s_add_u32 s60, 0x180, s80                                  // 000000003A30: 803C50FF 00000180
	s_cmp_lt_u32 s60, s81                                      // 000000003A38: BF0A513C
	s_cselect_b32 s57, s57, 0                                  // 000000003A3C: 85398039
	v_mfma_f32_16x16x32_fp8_fp8 v[68:71], a[50:51], a[10:11], v[68:71]// 000000003A40: D3F30044 1D121532
	buffer_load_dwordx4 a[68:71], v48, s[84:87], 0 offen offset:1024// 000000003A48: E05C1400 80954430
	s_add_u32 s60, 0x100, s80                                  // 000000003A50: 803C50FF 00000100
	s_cmp_lt_u32 s60, s81                                      // 000000003A58: BF0A513C
	s_cselect_b32 s58, s58, 0                                  // 000000003A5C: 853A803A
	v_mfma_f32_16x16x32_fp8_fp8 v[68:71], a[52:53], a[12:13], v[68:71]// 000000003A60: D3F30044 1D121934
	s_add_u32 s60, 0x100, s80                                  // 000000003A68: 803C50FF 00000100
	s_cmp_lt_u32 s60, s81                                      // 000000003A70: BF0A513C
	s_cselect_b32 s83, s83, 0                                  // 000000003A74: 85538053
	v_mfma_f32_16x16x32_fp8_fp8 v[68:71], a[54:55], a[14:15], v[68:71]// 000000003A78: D3F30044 1D121D36
	ds_read_b128 a[32:35], v2 offset:13056                     // 000000003A80: DBFE3300 20000002
	ds_read_b128 a[36:39], v2 offset:13120                     // 000000003A88: DBFE3340 24000002
	s_add_u32 s24, s58, s24                                    // 000000003A90: 8018183A
	s_addc_u32 s25, 0, s25                                     // 000000003A94: 82191980
	v_mfma_f32_16x16x32_fp8_fp8 v[72:75], a[48:49], a[16:17], v[72:75]// 000000003A98: D3F30048 1D222130
	s_add_u32 s20, s57, s20                                    // 000000003AA0: 80141439
	s_addc_u32 s21, 0, s21                                     // 000000003AA4: 82151580
	v_mfma_f32_16x16x32_fp8_fp8 v[72:75], a[50:51], a[18:19], v[72:75]// 000000003AA8: D3F30048 1D222532
	s_add_u32 s84, s83, s84                                    // 000000003AB0: 80545453
	s_addc_u32 s85, 0, s85                                     // 000000003AB4: 82555580
	v_mfma_f32_16x16x32_fp8_fp8 v[72:75], a[52:53], a[20:21], v[72:75]// 000000003AB8: D3F30048 1D222934
	v_mfma_f32_16x16x32_fp8_fp8 v[72:75], a[54:55], a[22:23], v[72:75]// 000000003AC0: D3F30048 1D222D36
	ds_read_b128 a[40:43], v2 offset:13568                     // 000000003AC8: DBFE3500 28000002
	ds_read_b128 a[44:47], v2 offset:13632                     // 000000003AD0: DBFE3540 2C000002
	s_addk_i32 s80, 0x80                                       // 000000003AD8: B7500080
	s_cmp_lt_i32 s80, s81                                      // 000000003ADC: BF045150
	s_cbranch_scc0 label_04AD                                  // 000000003AE0: BF840074
	s_waitcnt vmcnt(8) lgkmcnt(0)                              // 000000003AE4: BF8C0078
	v_mfma_f32_16x16x32_fp8_fp8 v[52:55], a[56:57], a[24:25], v[52:55]// 000000003AE8: D3F30034 1CD23138
	v_mfma_f32_16x16x32_fp8_fp8 v[52:55], a[58:59], a[26:27], v[52:55]// 000000003AF0: D3F30034 1CD2353A
	buffer_load_dwordx4 a[48:51], v48, s[24:27], 0 offen       // 000000003AF8: E05C1000 80863030
	v_mfma_f32_16x16x32_fp8_fp8 v[52:55], a[60:61], a[28:29], v[52:55]// 000000003B00: D3F30034 1CD2393C
	v_mfma_f32_16x16x32_fp8_fp8 v[52:55], a[62:63], a[30:31], v[52:55]// 000000003B08: D3F30034 1CD23D3E
	v_mfma_f32_16x16x32_fp8_fp8 v[56:59], a[56:57], a[32:33], v[56:59]// 000000003B10: D3F30038 1CE24138
	v_mfma_f32_16x16x32_fp8_fp8 v[56:59], a[58:59], a[34:35], v[56:59]// 000000003B18: D3F30038 1CE2453A
	buffer_load_dwordx4 a[52:55], v48, s[24:27], 0 offen offset:1024// 000000003B20: E05C1400 80863430
	buffer_load_dword v42, s[20:23], 0 offen lds               // 000000003B28: E0511000 8005002A
	s_add_u32 m0, 0x100, s49                                   // 000000003B30: 807C31FF 00000100
	v_mfma_f32_16x16x32_fp8_fp8 v[56:59], a[60:61], a[36:37], v[56:59]// 000000003B38: D3F30038 1CE2493C
	v_mfma_f32_16x16x32_fp8_fp8 v[56:59], a[62:63], a[38:39], v[56:59]// 000000003B40: D3F30038 1CE24D3E
	buffer_load_dword v43, s[20:23], 0 offen lds               // 000000003B48: E0511000 8005002B
	s_add_u32 m0, 0x200, s49                                   // 000000003B50: 807C31FF 00000200
	v_mfma_f32_16x16x32_fp8_fp8 v[60:63], a[56:57], a[40:41], v[60:63]// 000000003B58: D3F3003C 1CF25138
	v_mfma_f32_16x16x32_fp8_fp8 v[60:63], a[58:59], a[42:43], v[60:63]// 000000003B60: D3F3003C 1CF2553A
	buffer_load_dword v44, s[20:23], 0 offen lds               // 000000003B68: E0511000 8005002C
	s_add_u32 m0, 0x300, s49                                   // 000000003B70: 807C31FF 00000300
	v_mfma_f32_16x16x32_fp8_fp8 v[60:63], a[60:61], a[44:45], v[60:63]// 000000003B78: D3F3003C 1CF2593C
	v_mfma_f32_16x16x32_fp8_fp8 v[60:63], a[62:63], a[46:47], v[60:63]// 000000003B80: D3F3003C 1CF25D3E
	buffer_load_dword v45, s[20:23], 0 offen lds               // 000000003B88: E0511000 8005002D
	s_add_u32 m0, 0x400, s49                                   // 000000003B90: 807C31FF 00000400
	buffer_load_dword v46, s[20:23], 0 offen lds               // 000000003B98: E0511000 8005002E
	s_add_u32 m0, 0x500, s49                                   // 000000003BA0: 807C31FF 00000500
	buffer_load_dword v47, s[20:23], 0 offen lds               // 000000003BA8: E0511000 8005002F
	s_add_u32 m0, 0, s50                                       // 000000003BB0: 807C3280
	s_waitcnt vmcnt(8)                                         // 000000003BB4: BF8C0F78
	s_barrier                                                  // 000000003BB8: BF8A0000
	v_mfma_f32_16x16x32_fp8_fp8 v[64:67], a[64:65], a[24:25], v[64:67]// 000000003BBC: D3F30040 1D023140
	v_mfma_f32_16x16x32_fp8_fp8 v[64:67], a[66:67], a[26:27], v[64:67]// 000000003BC4: D3F30040 1D023542
	buffer_load_dwordx4 a[56:59], v48, s[84:87], 0 offen       // 000000003BCC: E05C1000 80953830
	v_mfma_f32_16x16x32_fp8_fp8 v[64:67], a[68:69], a[28:29], v[64:67]// 000000003BD4: D3F30040 1D023944
	v_mfma_f32_16x16x32_fp8_fp8 v[64:67], a[70:71], a[30:31], v[64:67]// 000000003BDC: D3F30040 1D023D46
	ds_read_b128 a[0:3], v2                                    // 000000003BE4: DBFE0000 00000002
	ds_read_b128 a[4:7], v2 offset:64                          // 000000003BEC: DBFE0040 04000002
	v_mfma_f32_16x16x32_fp8_fp8 v[68:71], a[64:65], a[32:33], v[68:71]// 000000003BF4: D3F30044 1D124140
	s_add_u32 s60, 0x180, s80                                  // 000000003BFC: 803C50FF 00000180
	s_cmp_lt_u32 s60, s81                                      // 000000003C04: BF0A513C
	s_cselect_b32 s57, s57, 0                                  // 000000003C08: 85398039
	v_mfma_f32_16x16x32_fp8_fp8 v[68:71], a[66:67], a[34:35], v[68:71]// 000000003C0C: D3F30044 1D124542
	buffer_load_dwordx4 a[60:63], v48, s[84:87], 0 offen offset:1024// 000000003C14: E05C1400 80953C30
	s_add_u32 s60, 0x100, s80                                  // 000000003C1C: 803C50FF 00000100
	s_cmp_lt_u32 s60, s81                                      // 000000003C24: BF0A513C
	s_cselect_b32 s58, s58, 0                                  // 000000003C28: 853A803A
	v_mfma_f32_16x16x32_fp8_fp8 v[68:71], a[68:69], a[36:37], v[68:71]// 000000003C2C: D3F30044 1D124944
	s_add_u32 s60, 0x100, s80                                  // 000000003C34: 803C50FF 00000100
	s_cmp_lt_u32 s60, s81                                      // 000000003C3C: BF0A513C
	s_cselect_b32 s83, s83, 0                                  // 000000003C40: 85538053
	v_mfma_f32_16x16x32_fp8_fp8 v[68:71], a[70:71], a[38:39], v[68:71]// 000000003C44: D3F30044 1D124D46
	ds_read_b128 a[8:11], v2 offset:512                        // 000000003C4C: DBFE0200 08000002
	ds_read_b128 a[12:15], v2 offset:576                       // 000000003C54: DBFE0240 0C000002
	s_add_u32 s24, s58, s24                                    // 000000003C5C: 8018183A
	s_addc_u32 s25, 0, s25                                     // 000000003C60: 82191980
	v_mfma_f32_16x16x32_fp8_fp8 v[72:75], a[64:65], a[40:41], v[72:75]// 000000003C64: D3F30048 1D225140
	s_add_u32 s20, s57, s20                                    // 000000003C6C: 80141439
	s_addc_u32 s21, 0, s21                                     // 000000003C70: 82151580
	v_mfma_f32_16x16x32_fp8_fp8 v[72:75], a[66:67], a[42:43], v[72:75]// 000000003C74: D3F30048 1D225542
	s_add_u32 s84, s83, s84                                    // 000000003C7C: 80545453
	s_addc_u32 s85, 0, s85                                     // 000000003C80: 82555580
	v_mfma_f32_16x16x32_fp8_fp8 v[72:75], a[68:69], a[44:45], v[72:75]// 000000003C84: D3F30048 1D225944
	v_mfma_f32_16x16x32_fp8_fp8 v[72:75], a[70:71], a[46:47], v[72:75]// 000000003C8C: D3F30048 1D225D46
	ds_read_b128 a[16:19], v2 offset:1024                      // 000000003C94: DBFE0400 10000002
	ds_read_b128 a[20:23], v2 offset:1088                      // 000000003C9C: DBFE0440 14000002
	s_addk_i32 s80, 0x80                                       // 000000003CA4: B7500080
	s_cmp_lt_i32 s80, s81                                      // 000000003CA8: BF045150
	s_cbranch_scc0 label_04AD                                  // 000000003CAC: BF840001
	s_branch label_01FA                                        // 000000003CB0: BF82FD4D

0000000000003cb4 <label_04AD>:
	v_mul_f32_dpp v52, v24, v52 row_newbcast:0 row_mask:0xf bank_mask:0xf// 000000003CB4: 0A6868FA FF015018
	v_mul_f32_dpp v53, v24, v53 row_newbcast:1 row_mask:0xf bank_mask:0xf// 000000003CBC: 0A6A6AFA FF015118
	v_mul_f32_dpp v54, v24, v54 row_newbcast:2 row_mask:0xf bank_mask:0xf// 000000003CC4: 0A6C6CFA FF015218
	v_mul_f32_dpp v55, v24, v55 row_newbcast:3 row_mask:0xf bank_mask:0xf// 000000003CCC: 0A6E6EFA FF015318
	v_mul_f32_dpp v56, v24, v56 row_newbcast:0 row_mask:0xf bank_mask:0xf// 000000003CD4: 0A7070FA FF015018
	v_mul_f32_dpp v57, v24, v57 row_newbcast:1 row_mask:0xf bank_mask:0xf// 000000003CDC: 0A7272FA FF015118
	v_mul_f32_dpp v58, v24, v58 row_newbcast:2 row_mask:0xf bank_mask:0xf// 000000003CE4: 0A7474FA FF015218
	v_mul_f32_dpp v59, v24, v59 row_newbcast:3 row_mask:0xf bank_mask:0xf// 000000003CEC: 0A7676FA FF015318
	v_mul_f32_dpp v60, v24, v60 row_newbcast:0 row_mask:0xf bank_mask:0xf// 000000003CF4: 0A7878FA FF015018
	v_mul_f32_dpp v61, v24, v61 row_newbcast:1 row_mask:0xf bank_mask:0xf// 000000003CFC: 0A7A7AFA FF015118
	v_mul_f32_dpp v62, v24, v62 row_newbcast:2 row_mask:0xf bank_mask:0xf// 000000003D04: 0A7C7CFA FF015218
	v_mul_f32_dpp v63, v24, v63 row_newbcast:3 row_mask:0xf bank_mask:0xf// 000000003D0C: 0A7E7EFA FF015318
	v_mul_f32_dpp v64, v27, v64 row_newbcast:0 row_mask:0xf bank_mask:0xf// 000000003D14: 0A8080FA FF01501B
	v_mul_f32_dpp v65, v27, v65 row_newbcast:1 row_mask:0xf bank_mask:0xf// 000000003D1C: 0A8282FA FF01511B
	v_mul_f32_dpp v66, v27, v66 row_newbcast:2 row_mask:0xf bank_mask:0xf// 000000003D24: 0A8484FA FF01521B
	v_mul_f32_dpp v67, v27, v67 row_newbcast:3 row_mask:0xf bank_mask:0xf// 000000003D2C: 0A8686FA FF01531B
	v_mul_f32_dpp v68, v27, v68 row_newbcast:0 row_mask:0xf bank_mask:0xf// 000000003D34: 0A8888FA FF01501B
	v_mul_f32_dpp v69, v27, v69 row_newbcast:1 row_mask:0xf bank_mask:0xf// 000000003D3C: 0A8A8AFA FF01511B
	v_mul_f32_dpp v70, v27, v70 row_newbcast:2 row_mask:0xf bank_mask:0xf// 000000003D44: 0A8C8CFA FF01521B
	v_mul_f32_dpp v71, v27, v71 row_newbcast:3 row_mask:0xf bank_mask:0xf// 000000003D4C: 0A8E8EFA FF01531B
	v_mul_f32_dpp v72, v27, v72 row_newbcast:0 row_mask:0xf bank_mask:0xf// 000000003D54: 0A9090FA FF01501B
	v_mul_f32_dpp v73, v27, v73 row_newbcast:1 row_mask:0xf bank_mask:0xf// 000000003D5C: 0A9292FA FF01511B
	v_mul_f32_dpp v74, v27, v74 row_newbcast:2 row_mask:0xf bank_mask:0xf// 000000003D64: 0A9494FA FF01521B
	v_mul_f32_dpp v75, v27, v75 row_newbcast:3 row_mask:0xf bank_mask:0xf// 000000003D6C: 0A9696FA FF01531B
	v_mov_b32_e32 v4, v33                                      // 000000003D74: 7E080321
	v_mov_b32_e32 v5, v4                                       // 000000003D78: 7E0A0304
	v_pk_mul_f32 v[52:53], v[4:5], v[52:53]                    // 000000003D7C: D3B14034 18026904
	v_pk_mul_f32 v[64:65], v[4:5], v[64:65]                    // 000000003D84: D3B14040 18028104
	v_pk_mul_f32 v[54:55], v[4:5], v[54:55]                    // 000000003D8C: D3B14036 18026D04
	v_pk_mul_f32 v[66:67], v[4:5], v[66:67]                    // 000000003D94: D3B14042 18028504
	v_mov_b32_e32 v4, v34                                      // 000000003D9C: 7E080322
	v_mov_b32_e32 v5, v4                                       // 000000003DA0: 7E0A0304
	v_pk_mul_f32 v[56:57], v[4:5], v[56:57]                    // 000000003DA4: D3B14038 18027104
	v_pk_mul_f32 v[68:69], v[4:5], v[68:69]                    // 000000003DAC: D3B14044 18028904
	v_pk_mul_f32 v[58:59], v[4:5], v[58:59]                    // 000000003DB4: D3B1403A 18027504
	v_pk_mul_f32 v[70:71], v[4:5], v[70:71]                    // 000000003DBC: D3B14046 18028D04
	v_mov_b32_e32 v4, v35                                      // 000000003DC4: 7E080323
	v_mov_b32_e32 v5, v4                                       // 000000003DC8: 7E0A0304
	v_pk_mul_f32 v[60:61], v[4:5], v[60:61]                    // 000000003DCC: D3B1403C 18027904
	v_pk_mul_f32 v[72:73], v[4:5], v[72:73]                    // 000000003DD4: D3B14048 18029104
	v_pk_mul_f32 v[62:63], v[4:5], v[62:63]                    // 000000003DDC: D3B1403E 18027D04
	v_pk_mul_f32 v[74:75], v[4:5], v[74:75]                    // 000000003DE4: D3B1404A 18029504
	s_cmp_eq_u32 s88, 0                                        // 000000003DEC: BF068058
	s_cbranch_scc0 label_074C                                  // 000000003DF0: BF84024F
	s_cmp_eq_u32 s89, 0                                        // 000000003DF4: BF068059
	s_cbranch_scc1 label_057C                                  // 000000003DF8: BF85007D
	v_mov_b32_e32 v8, v1                                       // 000000003DFC: 7E100301
	v_mov_b32_e32 v9, v1                                       // 000000003E00: 7E120301
	s_mov_b32 s60, s6                                          // 000000003E04: BEBC0006
	s_mov_b32 s61, s6                                          // 000000003E08: BEBD0006
	v_pk_mul_f32 v[4:5], v[52:53], v[52:53]                    // 000000003E0C: D3B14004 18026934
	v_pk_mul_f32 v[6:7], v[54:55], v[54:55]                    // 000000003E14: D3B14006 18026D36
	v_pk_fma_f32 v[4:5], v[4:5], s[78:79], v[8:9]              // 000000003E1C: D3B04004 1C209D04
	v_pk_fma_f32 v[6:7], v[6:7], s[78:79], v[8:9]              // 000000003E24: D3B04006 1C209D06
	v_pk_mul_f32 v[4:5], v[4:5], v[52:53]                      // 000000003E2C: D3B14004 18026904
	v_pk_mul_f32 v[6:7], v[6:7], v[54:55]                      // 000000003E34: D3B14006 18026D06
	v_pk_mul_f32 v[4:5], v[4:5], s[60:61]                      // 000000003E3C: D3B14004 18007904
	v_pk_mul_f32 v[6:7], v[6:7], s[60:61]                      // 000000003E44: D3B14006 18007906
	v_exp_f32_e32 v4, v4                                       // 000000003E4C: 7E084104
	v_exp_f32_e32 v5, v5                                       // 000000003E50: 7E0A4105
	v_exp_f32_e32 v6, v6                                       // 000000003E54: 7E0C4106
	v_exp_f32_e32 v7, v7                                       // 000000003E58: 7E0E4107
	v_add_f32_e64 v4, v4, 1.0                                  // 000000003E5C: D1010004 0001E504
	v_add_f32_e64 v5, v5, 1.0                                  // 000000003E64: D1010005 0001E505
	v_add_f32_e64 v6, v6, 1.0                                  // 000000003E6C: D1010006 0001E506
	v_add_f32_e64 v7, v7, 1.0                                  // 000000003E74: D1010007 0001E507
	v_rcp_f32_e32 v4, v4                                       // 000000003E7C: 7E084504
	v_rcp_f32_e32 v5, v5                                       // 000000003E80: 7E0A4505
	v_rcp_f32_e32 v6, v6                                       // 000000003E84: 7E0C4506
	v_rcp_f32_e32 v7, v7                                       // 000000003E88: 7E0E4507
	v_mul_f32_e32 v52, v52, v4                                 // 000000003E8C: 0A680934
	v_mul_f32_e32 v53, v53, v5                                 // 000000003E90: 0A6A0B35
	v_mul_f32_e32 v54, v54, v6                                 // 000000003E94: 0A6C0D36
	v_mul_f32_e32 v55, v55, v7                                 // 000000003E98: 0A6E0F37
	v_mul_f32_e32 v52, v52, v64                                // 000000003E9C: 0A688134
	v_mul_f32_e32 v53, v53, v65                                // 000000003EA0: 0A6A8335
	v_mul_f32_e32 v54, v54, v66                                // 000000003EA4: 0A6C8536
	v_mul_f32_e32 v55, v55, v67                                // 000000003EA8: 0A6E8737
	v_pk_mul_f32 v[4:5], v[56:57], v[56:57]                    // 000000003EAC: D3B14004 18027138
	v_pk_mul_f32 v[6:7], v[58:59], v[58:59]                    // 000000003EB4: D3B14006 1802753A
	v_pk_fma_f32 v[4:5], v[4:5], s[78:79], v[8:9]              // 000000003EBC: D3B04004 1C209D04
	v_pk_fma_f32 v[6:7], v[6:7], s[78:79], v[8:9]              // 000000003EC4: D3B04006 1C209D06
	v_pk_mul_f32 v[4:5], v[4:5], v[56:57]                      // 000000003ECC: D3B14004 18027104
	v_pk_mul_f32 v[6:7], v[6:7], v[58:59]                      // 000000003ED4: D3B14006 18027506
	v_pk_mul_f32 v[4:5], v[4:5], s[60:61]                      // 000000003EDC: D3B14004 18007904
	v_pk_mul_f32 v[6:7], v[6:7], s[60:61]                      // 000000003EE4: D3B14006 18007906
	v_exp_f32_e32 v4, v4                                       // 000000003EEC: 7E084104
	v_exp_f32_e32 v5, v5                                       // 000000003EF0: 7E0A4105
	v_exp_f32_e32 v6, v6                                       // 000000003EF4: 7E0C4106
	v_exp_f32_e32 v7, v7                                       // 000000003EF8: 7E0E4107
	v_add_f32_e64 v4, v4, 1.0                                  // 000000003EFC: D1010004 0001E504
	v_add_f32_e64 v5, v5, 1.0                                  // 000000003F04: D1010005 0001E505
	v_add_f32_e64 v6, v6, 1.0                                  // 000000003F0C: D1010006 0001E506
	v_add_f32_e64 v7, v7, 1.0                                  // 000000003F14: D1010007 0001E507
	v_rcp_f32_e32 v4, v4                                       // 000000003F1C: 7E084504
	v_rcp_f32_e32 v5, v5                                       // 000000003F20: 7E0A4505
	v_rcp_f32_e32 v6, v6                                       // 000000003F24: 7E0C4506
	v_rcp_f32_e32 v7, v7                                       // 000000003F28: 7E0E4507
	v_mul_f32_e32 v56, v56, v4                                 // 000000003F2C: 0A700938
	v_mul_f32_e32 v57, v57, v5                                 // 000000003F30: 0A720B39
	v_mul_f32_e32 v58, v58, v6                                 // 000000003F34: 0A740D3A
	v_mul_f32_e32 v59, v59, v7                                 // 000000003F38: 0A760F3B
	v_mul_f32_e32 v56, v56, v68                                // 000000003F3C: 0A708938
	v_mul_f32_e32 v57, v57, v69                                // 000000003F40: 0A728B39
	v_mul_f32_e32 v58, v58, v70                                // 000000003F44: 0A748D3A
	v_mul_f32_e32 v59, v59, v71                                // 000000003F48: 0A768F3B
	v_pk_mul_f32 v[4:5], v[60:61], v[60:61]                    // 000000003F4C: D3B14004 1802793C
	v_pk_mul_f32 v[6:7], v[62:63], v[62:63]                    // 000000003F54: D3B14006 18027D3E
	v_pk_fma_f32 v[4:5], v[4:5], s[78:79], v[8:9]              // 000000003F5C: D3B04004 1C209D04
	v_pk_fma_f32 v[6:7], v[6:7], s[78:79], v[8:9]              // 000000003F64: D3B04006 1C209D06
	v_pk_mul_f32 v[4:5], v[4:5], v[60:61]                      // 000000003F6C: D3B14004 18027904
	v_pk_mul_f32 v[6:7], v[6:7], v[62:63]                      // 000000003F74: D3B14006 18027D06
	v_pk_mul_f32 v[4:5], v[4:5], s[60:61]                      // 000000003F7C: D3B14004 18007904
	v_pk_mul_f32 v[6:7], v[6:7], s[60:61]                      // 000000003F84: D3B14006 18007906
	v_exp_f32_e32 v4, v4                                       // 000000003F8C: 7E084104
	v_exp_f32_e32 v5, v5                                       // 000000003F90: 7E0A4105
	v_exp_f32_e32 v6, v6                                       // 000000003F94: 7E0C4106
	v_exp_f32_e32 v7, v7                                       // 000000003F98: 7E0E4107
	v_add_f32_e64 v4, v4, 1.0                                  // 000000003F9C: D1010004 0001E504
	v_add_f32_e64 v5, v5, 1.0                                  // 000000003FA4: D1010005 0001E505
	v_add_f32_e64 v6, v6, 1.0                                  // 000000003FAC: D1010006 0001E506
	v_add_f32_e64 v7, v7, 1.0                                  // 000000003FB4: D1010007 0001E507
	v_rcp_f32_e32 v4, v4                                       // 000000003FBC: 7E084504
	v_rcp_f32_e32 v5, v5                                       // 000000003FC0: 7E0A4505
	v_rcp_f32_e32 v6, v6                                       // 000000003FC4: 7E0C4506
	v_rcp_f32_e32 v7, v7                                       // 000000003FC8: 7E0E4507
	v_mul_f32_e32 v60, v60, v4                                 // 000000003FCC: 0A78093C
	v_mul_f32_e32 v61, v61, v5                                 // 000000003FD0: 0A7A0B3D
	v_mul_f32_e32 v62, v62, v6                                 // 000000003FD4: 0A7C0D3E
	v_mul_f32_e32 v63, v63, v7                                 // 000000003FD8: 0A7E0F3F
	v_mul_f32_e32 v60, v60, v72                                // 000000003FDC: 0A78913C
	v_mul_f32_e32 v61, v61, v73                                // 000000003FE0: 0A7A933D
	v_mul_f32_e32 v62, v62, v74                                // 000000003FE4: 0A7C953E
	v_mul_f32_e32 v63, v63, v75                                // 000000003FE8: 0A7E973F
	s_branch label_05DC                                        // 000000003FEC: BF820060

0000000000003ff0 <label_057C>:
	v_mul_f32_e64 v4, -v52, s6                                 // 000000003FF0: D1050004 20000D34
	v_mul_f32_e64 v5, -v53, s6                                 // 000000003FF8: D1050005 20000D35
	v_mul_f32_e64 v6, -v54, s6                                 // 000000004000: D1050006 20000D36
	v_mul_f32_e64 v7, -v55, s6                                 // 000000004008: D1050007 20000D37
	v_exp_f32_e32 v4, v4                                       // 000000004010: 7E084104
	v_exp_f32_e32 v5, v5                                       // 000000004014: 7E0A4105
	v_exp_f32_e32 v6, v6                                       // 000000004018: 7E0C4106
	v_exp_f32_e32 v7, v7                                       // 00000000401C: 7E0E4107
	v_add_f32_e64 v4, v4, 1.0                                  // 000000004020: D1010004 0001E504
	v_add_f32_e64 v5, v5, 1.0                                  // 000000004028: D1010005 0001E505
	v_add_f32_e64 v6, v6, 1.0                                  // 000000004030: D1010006 0001E506
	v_add_f32_e64 v7, v7, 1.0                                  // 000000004038: D1010007 0001E507
	v_rcp_f32_e32 v4, v4                                       // 000000004040: 7E084504
	v_rcp_f32_e32 v5, v5                                       // 000000004044: 7E0A4505
	v_rcp_f32_e32 v6, v6                                       // 000000004048: 7E0C4506
	v_rcp_f32_e32 v7, v7                                       // 00000000404C: 7E0E4507
	v_mul_f32_e32 v52, v52, v4                                 // 000000004050: 0A680934
	v_mul_f32_e32 v53, v53, v5                                 // 000000004054: 0A6A0B35
	v_mul_f32_e32 v54, v54, v6                                 // 000000004058: 0A6C0D36
	v_mul_f32_e32 v55, v55, v7                                 // 00000000405C: 0A6E0F37
	v_mul_f32_e32 v52, v52, v64                                // 000000004060: 0A688134
	v_mul_f32_e32 v53, v53, v65                                // 000000004064: 0A6A8335
	v_mul_f32_e32 v54, v54, v66                                // 000000004068: 0A6C8536
	v_mul_f32_e32 v55, v55, v67                                // 00000000406C: 0A6E8737
	v_mul_f32_e64 v4, -v56, s6                                 // 000000004070: D1050004 20000D38
	v_mul_f32_e64 v5, -v57, s6                                 // 000000004078: D1050005 20000D39
	v_mul_f32_e64 v6, -v58, s6                                 // 000000004080: D1050006 20000D3A
	v_mul_f32_e64 v7, -v59, s6                                 // 000000004088: D1050007 20000D3B
	v_exp_f32_e32 v4, v4                                       // 000000004090: 7E084104
	v_exp_f32_e32 v5, v5                                       // 000000004094: 7E0A4105
	v_exp_f32_e32 v6, v6                                       // 000000004098: 7E0C4106
	v_exp_f32_e32 v7, v7                                       // 00000000409C: 7E0E4107
	v_add_f32_e64 v4, v4, 1.0                                  // 0000000040A0: D1010004 0001E504
	v_add_f32_e64 v5, v5, 1.0                                  // 0000000040A8: D1010005 0001E505
	v_add_f32_e64 v6, v6, 1.0                                  // 0000000040B0: D1010006 0001E506
	v_add_f32_e64 v7, v7, 1.0                                  // 0000000040B8: D1010007 0001E507
	v_rcp_f32_e32 v4, v4                                       // 0000000040C0: 7E084504
	v_rcp_f32_e32 v5, v5                                       // 0000000040C4: 7E0A4505
	v_rcp_f32_e32 v6, v6                                       // 0000000040C8: 7E0C4506
	v_rcp_f32_e32 v7, v7                                       // 0000000040CC: 7E0E4507
	v_mul_f32_e32 v56, v56, v4                                 // 0000000040D0: 0A700938
	v_mul_f32_e32 v57, v57, v5                                 // 0000000040D4: 0A720B39
	v_mul_f32_e32 v58, v58, v6                                 // 0000000040D8: 0A740D3A
	v_mul_f32_e32 v59, v59, v7                                 // 0000000040DC: 0A760F3B
	v_mul_f32_e32 v56, v56, v68                                // 0000000040E0: 0A708938
	v_mul_f32_e32 v57, v57, v69                                // 0000000040E4: 0A728B39
	v_mul_f32_e32 v58, v58, v70                                // 0000000040E8: 0A748D3A
	v_mul_f32_e32 v59, v59, v71                                // 0000000040EC: 0A768F3B
	v_mul_f32_e64 v4, -v60, s6                                 // 0000000040F0: D1050004 20000D3C
	v_mul_f32_e64 v5, -v61, s6                                 // 0000000040F8: D1050005 20000D3D
	v_mul_f32_e64 v6, -v62, s6                                 // 000000004100: D1050006 20000D3E
	v_mul_f32_e64 v7, -v63, s6                                 // 000000004108: D1050007 20000D3F
	v_exp_f32_e32 v4, v4                                       // 000000004110: 7E084104
	v_exp_f32_e32 v5, v5                                       // 000000004114: 7E0A4105
	v_exp_f32_e32 v6, v6                                       // 000000004118: 7E0C4106
	v_exp_f32_e32 v7, v7                                       // 00000000411C: 7E0E4107
	v_add_f32_e64 v4, v4, 1.0                                  // 000000004120: D1010004 0001E504
	v_add_f32_e64 v5, v5, 1.0                                  // 000000004128: D1010005 0001E505
	v_add_f32_e64 v6, v6, 1.0                                  // 000000004130: D1010006 0001E506
	v_add_f32_e64 v7, v7, 1.0                                  // 000000004138: D1010007 0001E507
	v_rcp_f32_e32 v4, v4                                       // 000000004140: 7E084504
	v_rcp_f32_e32 v5, v5                                       // 000000004144: 7E0A4505
	v_rcp_f32_e32 v6, v6                                       // 000000004148: 7E0C4506
	v_rcp_f32_e32 v7, v7                                       // 00000000414C: 7E0E4507
	v_mul_f32_e32 v60, v60, v4                                 // 000000004150: 0A78093C
	v_mul_f32_e32 v61, v61, v5                                 // 000000004154: 0A7A0B3D
	v_mul_f32_e32 v62, v62, v6                                 // 000000004158: 0A7C0D3E
	v_mul_f32_e32 v63, v63, v7                                 // 00000000415C: 0A7E0F3F
	v_mul_f32_e32 v60, v60, v72                                // 000000004160: 0A78913C
	v_mul_f32_e32 v61, v61, v73                                // 000000004164: 0A7A933D
	v_mul_f32_e32 v62, v62, v74                                // 000000004168: 0A7C953E
	v_mul_f32_e32 v63, v63, v75                                // 00000000416C: 0A7E973F

0000000000004170 <label_05DC>:
	v_cmp_u_f32_e64 s[46:47], v52, v52                         // 000000004170: D048002E 00026934
	v_add3_u32 v16, v52, v19, 1                                // 000000004178: D1FF0010 02062734
	v_cndmask_b32_e64 v4, v16, v18, s[46:47]                   // 000000004180: D1000004 00BA2510
	v_cmp_u_f32_e64 s[46:47], v53, v53                         // 000000004188: D048002E 00026B35
	v_add3_u32 v16, v53, v19, 1                                // 000000004190: D1FF0010 02062735
	v_cndmask_b32_e64 v5, v16, v18, s[46:47]                   // 000000004198: D1000005 00BA2510
	v_perm_b32 v52, v5, v4, s52                                // 0000000041A0: D1ED0034 00D20905
	v_cmp_u_f32_e64 s[46:47], v54, v54                         // 0000000041A8: D048002E 00026D36
	v_add3_u32 v16, v54, v19, 1                                // 0000000041B0: D1FF0010 02062736
	v_cndmask_b32_e64 v4, v16, v18, s[46:47]                   // 0000000041B8: D1000004 00BA2510
	v_cmp_u_f32_e64 s[46:47], v55, v55                         // 0000000041C0: D048002E 00026F37
	v_add3_u32 v16, v55, v19, 1                                // 0000000041C8: D1FF0010 02062737
	v_cndmask_b32_e64 v5, v16, v18, s[46:47]                   // 0000000041D0: D1000005 00BA2510
	v_perm_b32 v53, v5, v4, s52                                // 0000000041D8: D1ED0035 00D20905
	v_cmp_u_f32_e64 s[46:47], v56, v56                         // 0000000041E0: D048002E 00027138
	v_add3_u32 v16, v56, v19, 1                                // 0000000041E8: D1FF0010 02062738
	v_cndmask_b32_e64 v4, v16, v18, s[46:47]                   // 0000000041F0: D1000004 00BA2510
	v_cmp_u_f32_e64 s[46:47], v57, v57                         // 0000000041F8: D048002E 00027339
	v_add3_u32 v16, v57, v19, 1                                // 000000004200: D1FF0010 02062739
	v_cndmask_b32_e64 v5, v16, v18, s[46:47]                   // 000000004208: D1000005 00BA2510
	v_perm_b32 v54, v5, v4, s52                                // 000000004210: D1ED0036 00D20905
	v_cmp_u_f32_e64 s[46:47], v58, v58                         // 000000004218: D048002E 0002753A
	v_add3_u32 v16, v58, v19, 1                                // 000000004220: D1FF0010 0206273A
	v_cndmask_b32_e64 v4, v16, v18, s[46:47]                   // 000000004228: D1000004 00BA2510
	v_cmp_u_f32_e64 s[46:47], v59, v59                         // 000000004230: D048002E 0002773B
	v_add3_u32 v16, v59, v19, 1                                // 000000004238: D1FF0010 0206273B
	v_cndmask_b32_e64 v5, v16, v18, s[46:47]                   // 000000004240: D1000005 00BA2510
	v_perm_b32 v55, v5, v4, s52                                // 000000004248: D1ED0037 00D20905
	v_cmp_u_f32_e64 s[46:47], v60, v60                         // 000000004250: D048002E 0002793C
	v_add3_u32 v16, v60, v19, 1                                // 000000004258: D1FF0010 0206273C
	v_cndmask_b32_e64 v4, v16, v18, s[46:47]                   // 000000004260: D1000004 00BA2510
	v_cmp_u_f32_e64 s[46:47], v61, v61                         // 000000004268: D048002E 00027B3D
	v_add3_u32 v16, v61, v19, 1                                // 000000004270: D1FF0010 0206273D
	v_cndmask_b32_e64 v5, v16, v18, s[46:47]                   // 000000004278: D1000005 00BA2510
	v_perm_b32 v56, v5, v4, s52                                // 000000004280: D1ED0038 00D20905
	v_cmp_u_f32_e64 s[46:47], v62, v62                         // 000000004288: D048002E 00027D3E
	v_add3_u32 v16, v62, v19, 1                                // 000000004290: D1FF0010 0206273E
	v_cndmask_b32_e64 v4, v16, v18, s[46:47]                   // 000000004298: D1000004 00BA2510
	v_cmp_u_f32_e64 s[46:47], v63, v63                         // 0000000042A0: D048002E 00027F3F
	v_add3_u32 v16, v63, v19, 1                                // 0000000042A8: D1FF0010 0206273F
	v_cndmask_b32_e64 v5, v16, v18, s[46:47]                   // 0000000042B0: D1000005 00BA2510
	v_perm_b32 v57, v5, v4, s52                                // 0000000042B8: D1ED0039 00D20905
	ds_write_b64 v20, v[52:53]                                 // 0000000042C0: D89A0000 00003414
	ds_write_b64 v20, v[54:55] offset:2176                     // 0000000042C8: D89A0880 00003614
	ds_write_b64 v20, v[56:57] offset:4352                     // 0000000042D0: D89A1100 00003814
	v_lshrrev_b32_e32 v4, 5, v0                                // 0000000042D8: 20080085
	v_xor_b32_e32 v5, 1, v4                                    // 0000000042DC: 2A0A0881
	s_mul_i32 s60, s65, 2                                      // 0000000042E0: 923C8241
	s_cmp_eq_u32 s88, 0                                        // 0000000042E4: BF068058
	s_cselect_b32 s61, 1, 4                                    // 0000000042E8: 853D8481
	s_mul_i32 s60, s61, s60                                    // 0000000042EC: 923C3C3D
	v_readlane_b32 s82, v3, 0                                  // 0000000042F0: D2890052 00010103
	s_lshr_b32 s61, s82, 24                                    // 0000000042F8: 8F3D9852
	s_and_b32 s82, s82, 0xffffff                               // 0000000042FC: 8652FF52 00FFFFFF
	s_mul_i32 s82, s82, s71                                    // 000000004304: 92524752
	s_mul_i32 s61, s60, s61                                    // 000000004308: 923D3D3C
	s_add_u32 s82, s82, s61                                    // 00000000430C: 80523D52
	v_mul_lo_u32 v6, v5, s82                                   // 000000004310: D2850006 0000A505
	v_readlane_b32 s82, v3, 1                                  // 000000004318: D2890052 00010303
	s_lshr_b32 s61, s82, 24                                    // 000000004320: 8F3D9852
	s_and_b32 s82, s82, 0xffffff                               // 000000004324: 8652FF52 00FFFFFF
	s_mul_i32 s82, s82, s71                                    // 00000000432C: 92524752
	s_mul_i32 s61, s60, s61                                    // 000000004330: 923D3D3C
	s_add_u32 s82, s82, s61                                    // 000000004334: 80523D52
	v_mul_lo_u32 v7, v4, s82                                   // 000000004338: D2850007 0000A504
	v_add_u32_e32 v42, v6, v7                                  // 000000004340: 68540F06
	v_readlane_b32 s82, v3, 2                                  // 000000004344: D2890052 00010503
	s_lshr_b32 s61, s82, 24                                    // 00000000434C: 8F3D9852
	s_and_b32 s82, s82, 0xffffff                               // 000000004350: 8652FF52 00FFFFFF
	s_mul_i32 s82, s82, s71                                    // 000000004358: 92524752
	s_mul_i32 s61, s60, s61                                    // 00000000435C: 923D3D3C
	s_add_u32 s82, s82, s61                                    // 000000004360: 80523D52
	v_mul_lo_u32 v6, v5, s82                                   // 000000004364: D2850006 0000A505
	v_readlane_b32 s82, v3, 3                                  // 00000000436C: D2890052 00010703
	s_lshr_b32 s61, s82, 24                                    // 000000004374: 8F3D9852
	s_and_b32 s82, s82, 0xffffff                               // 000000004378: 8652FF52 00FFFFFF
	s_mul_i32 s82, s82, s71                                    // 000000004380: 92524752
	s_mul_i32 s61, s60, s61                                    // 000000004384: 923D3D3C
	s_add_u32 s82, s82, s61                                    // 000000004388: 80523D52
	v_mul_lo_u32 v7, v4, s82                                   // 00000000438C: D2850007 0000A504
	v_add_u32_e32 v43, v6, v7                                  // 000000004394: 68560F06
	v_readlane_b32 s82, v3, 4                                  // 000000004398: D2890052 00010903
	s_lshr_b32 s61, s82, 24                                    // 0000000043A0: 8F3D9852
	s_and_b32 s82, s82, 0xffffff                               // 0000000043A4: 8652FF52 00FFFFFF
	s_mul_i32 s82, s82, s71                                    // 0000000043AC: 92524752
	s_mul_i32 s61, s60, s61                                    // 0000000043B0: 923D3D3C
	s_add_u32 s82, s82, s61                                    // 0000000043B4: 80523D52
	v_mul_lo_u32 v6, v5, s82                                   // 0000000043B8: D2850006 0000A505
	v_readlane_b32 s82, v3, 5                                  // 0000000043C0: D2890052 00010B03
	s_lshr_b32 s61, s82, 24                                    // 0000000043C8: 8F3D9852
	s_and_b32 s82, s82, 0xffffff                               // 0000000043CC: 8652FF52 00FFFFFF
	s_mul_i32 s82, s82, s71                                    // 0000000043D4: 92524752
	s_mul_i32 s61, s60, s61                                    // 0000000043D8: 923D3D3C
	s_add_u32 s82, s82, s61                                    // 0000000043DC: 80523D52
	v_mul_lo_u32 v7, v4, s82                                   // 0000000043E0: D2850007 0000A504
	v_add_u32_e32 v44, v6, v7                                  // 0000000043E8: 68580F06
	v_readlane_b32 s82, v3, 6                                  // 0000000043EC: D2890052 00010D03
	s_lshr_b32 s61, s82, 24                                    // 0000000043F4: 8F3D9852
	s_and_b32 s82, s82, 0xffffff                               // 0000000043F8: 8652FF52 00FFFFFF
	s_mul_i32 s82, s82, s71                                    // 000000004400: 92524752
	s_mul_i32 s61, s60, s61                                    // 000000004404: 923D3D3C
	s_add_u32 s82, s82, s61                                    // 000000004408: 80523D52
	v_mul_lo_u32 v6, v5, s82                                   // 00000000440C: D2850006 0000A505
	v_readlane_b32 s82, v3, 7                                  // 000000004414: D2890052 00010F03
	s_lshr_b32 s61, s82, 24                                    // 00000000441C: 8F3D9852
	s_and_b32 s82, s82, 0xffffff                               // 000000004420: 8652FF52 00FFFFFF
	s_mul_i32 s82, s82, s71                                    // 000000004428: 92524752
	s_mul_i32 s61, s60, s61                                    // 00000000442C: 923D3D3C
	s_add_u32 s82, s82, s61                                    // 000000004430: 80523D52
	v_mul_lo_u32 v7, v4, s82                                   // 000000004434: D2850007 0000A504
	v_add_u32_e32 v45, v6, v7                                  // 00000000443C: 685A0F06
	v_readlane_b32 s82, v3, 8                                  // 000000004440: D2890052 00011103
	s_lshr_b32 s61, s82, 24                                    // 000000004448: 8F3D9852
	s_and_b32 s82, s82, 0xffffff                               // 00000000444C: 8652FF52 00FFFFFF
	s_mul_i32 s82, s82, s71                                    // 000000004454: 92524752
	s_mul_i32 s61, s60, s61                                    // 000000004458: 923D3D3C
	s_add_u32 s82, s82, s61                                    // 00000000445C: 80523D52
	v_mul_lo_u32 v6, v5, s82                                   // 000000004460: D2850006 0000A505
	v_readlane_b32 s82, v3, 9                                  // 000000004468: D2890052 00011303
	s_lshr_b32 s61, s82, 24                                    // 000000004470: 8F3D9852
	s_and_b32 s82, s82, 0xffffff                               // 000000004474: 8652FF52 00FFFFFF
	s_mul_i32 s82, s82, s71                                    // 00000000447C: 92524752
	s_mul_i32 s61, s60, s61                                    // 000000004480: 923D3D3C
	s_add_u32 s82, s82, s61                                    // 000000004484: 80523D52
	v_mul_lo_u32 v7, v4, s82                                   // 000000004488: D2850007 0000A504
	v_add_u32_e32 v46, v6, v7                                  // 000000004490: 685C0F06
	v_readlane_b32 s82, v3, 10                                 // 000000004494: D2890052 00011503
	s_lshr_b32 s61, s82, 24                                    // 00000000449C: 8F3D9852
	s_and_b32 s82, s82, 0xffffff                               // 0000000044A0: 8652FF52 00FFFFFF
	s_mul_i32 s82, s82, s71                                    // 0000000044A8: 92524752
	s_mul_i32 s61, s60, s61                                    // 0000000044AC: 923D3D3C
	s_add_u32 s82, s82, s61                                    // 0000000044B0: 80523D52
	v_mul_lo_u32 v6, v5, s82                                   // 0000000044B4: D2850006 0000A505
	v_readlane_b32 s82, v3, 11                                 // 0000000044BC: D2890052 00011703
	s_lshr_b32 s61, s82, 24                                    // 0000000044C4: 8F3D9852
	s_and_b32 s82, s82, 0xffffff                               // 0000000044C8: 8652FF52 00FFFFFF
	s_mul_i32 s82, s82, s71                                    // 0000000044D0: 92524752
	s_mul_i32 s61, s60, s61                                    // 0000000044D4: 923D3D3C
	s_add_u32 s82, s82, s61                                    // 0000000044D8: 80523D52
	v_mul_lo_u32 v7, v4, s82                                   // 0000000044DC: D2850007 0000A504
	v_add_u32_e32 v47, v6, v7                                  // 0000000044E4: 685E0F06
	v_and_b32_e32 v4, 31, v0                                   // 0000000044E8: 2608009F
	v_lshrrev_b32_e32 v4, 1, v4                                // 0000000044EC: 20080881
	s_cmp_eq_u32 s88, 0                                        // 0000000044F0: BF068058
	s_cselect_b32 s61, 2, 4                                    // 0000000044F4: 853D8482
	v_mul_lo_u32 v4, v4, s61                                   // 0000000044F8: D2850004 00007B04
	v_and_b32_e64 v5, v0, 1                                    // 000000004500: D1130005 00010300
	v_add_u32_e32 v4, v4, v5                                   // 000000004508: 68080B04
	v_lshlrev_b32_e32 v4, 2, v4                                // 00000000450C: 24080882
	v_add_u32_e32 v42, v42, v4                                 // 000000004510: 6854092A
	v_add_u32_e32 v43, v43, v4                                 // 000000004514: 6856092B
	v_add_u32_e32 v44, v44, v4                                 // 000000004518: 6858092C
	v_add_u32_e32 v45, v45, v4                                 // 00000000451C: 685A092D
	v_add_u32_e32 v46, v46, v4                                 // 000000004520: 685C092E
	v_add_u32_e32 v47, v47, v4                                 // 000000004524: 685E092F
	s_waitcnt lgkmcnt(0)                                       // 000000004528: BF8CC07F
	s_barrier                                                  // 00000000452C: BF8A0000
	ds_read_b32 v52, v21                                       // 000000004530: D86C0000 34000015
	ds_read_b32 v53, v21 offset:64                             // 000000004538: D86C0040 35000015
	ds_read_b32 v54, v21 offset:2176                           // 000000004540: D86C0880 36000015
	ds_read_b32 v55, v21 offset:2240                           // 000000004548: D86C08C0 37000015
	ds_read_b32 v56, v21 offset:4352                           // 000000004550: D86C1100 38000015
	ds_read_b32 v57, v21 offset:4416                           // 000000004558: D86C1140 39000015
	s_waitcnt lgkmcnt(0)                                       // 000000004560: BF8CC07F
	s_mov_b32 s36, -1                                          // 000000004564: BEA400C1
	s_mov_b32 s37, -1                                          // 000000004568: BEA500C1
	v_mov_b32_e32 v7, 0                                        // 00000000456C: 7E0E0280
	s_or_b32 s9, s9, 0x40000                                   // 000000004570: 8709FF09 00040000
	s_mov_b64 exec, s[36:37]                                   // 000000004578: BEFE0124
	v_mov_b32_e32 v6, v42                                      // 00000000457C: 7E0C032A
	s_mov_b64 s[60:61], 0                                      // 000000004580: BEBC0180
	v_readlane_b32 s82, v3, 0                                  // 000000004584: D2890052 00010103
	s_and_b32 s82, s82, 0xffffff                               // 00000000458C: 8652FF52 00FFFFFF
	s_cmp_lt_u32 s82, s66                                      // 000000004594: BF0A4252
	s_cselect_b32 s20, s36, s60                                // 000000004598: 85143C24
	v_readlane_b32 s82, v3, 1                                  // 00000000459C: D2890052 00010303
	s_and_b32 s82, s82, 0xffffff                               // 0000000045A4: 8652FF52 00FFFFFF
	s_cmp_lt_u32 s82, s66                                      // 0000000045AC: BF0A4252
	s_cselect_b32 s21, s36, s60                                // 0000000045B0: 85153C24
	s_mov_b64 exec, s[20:21]                                   // 0000000045B4: BEFE0114
	buffer_store_dword v52, v6, s[8:11], 0 offen               // 0000000045B8: E0701000 80023406
	s_mov_b64 exec, s[36:37]                                   // 0000000045C0: BEFE0124
	v_mov_b32_e32 v6, v43                                      // 0000000045C4: 7E0C032B
	s_mov_b64 s[60:61], 0                                      // 0000000045C8: BEBC0180
	v_readlane_b32 s82, v3, 2                                  // 0000000045CC: D2890052 00010503
	s_and_b32 s82, s82, 0xffffff                               // 0000000045D4: 8652FF52 00FFFFFF
	s_cmp_lt_u32 s82, s66                                      // 0000000045DC: BF0A4252
	s_cselect_b32 s20, s36, s60                                // 0000000045E0: 85143C24
	v_readlane_b32 s82, v3, 3                                  // 0000000045E4: D2890052 00010703
	s_and_b32 s82, s82, 0xffffff                               // 0000000045EC: 8652FF52 00FFFFFF
	s_cmp_lt_u32 s82, s66                                      // 0000000045F4: BF0A4252
	s_cselect_b32 s21, s36, s60                                // 0000000045F8: 85153C24
	s_mov_b64 exec, s[20:21]                                   // 0000000045FC: BEFE0114
	buffer_store_dword v53, v6, s[8:11], 0 offen               // 000000004600: E0701000 80023506
	s_mov_b64 exec, s[36:37]                                   // 000000004608: BEFE0124
	v_mov_b32_e32 v6, v44                                      // 00000000460C: 7E0C032C
	s_mov_b64 s[60:61], 0                                      // 000000004610: BEBC0180
	v_readlane_b32 s82, v3, 4                                  // 000000004614: D2890052 00010903
	s_and_b32 s82, s82, 0xffffff                               // 00000000461C: 8652FF52 00FFFFFF
	s_cmp_lt_u32 s82, s66                                      // 000000004624: BF0A4252
	s_cselect_b32 s20, s36, s60                                // 000000004628: 85143C24
	v_readlane_b32 s82, v3, 5                                  // 00000000462C: D2890052 00010B03
	s_and_b32 s82, s82, 0xffffff                               // 000000004634: 8652FF52 00FFFFFF
	s_cmp_lt_u32 s82, s66                                      // 00000000463C: BF0A4252
	s_cselect_b32 s21, s36, s60                                // 000000004640: 85153C24
	s_mov_b64 exec, s[20:21]                                   // 000000004644: BEFE0114
	buffer_store_dword v54, v6, s[8:11], 0 offen               // 000000004648: E0701000 80023606
	s_mov_b64 exec, s[36:37]                                   // 000000004650: BEFE0124
	v_mov_b32_e32 v6, v45                                      // 000000004654: 7E0C032D
	s_mov_b64 s[60:61], 0                                      // 000000004658: BEBC0180
	v_readlane_b32 s82, v3, 6                                  // 00000000465C: D2890052 00010D03
	s_and_b32 s82, s82, 0xffffff                               // 000000004664: 8652FF52 00FFFFFF
	s_cmp_lt_u32 s82, s66                                      // 00000000466C: BF0A4252
	s_cselect_b32 s20, s36, s60                                // 000000004670: 85143C24
	v_readlane_b32 s82, v3, 7                                  // 000000004674: D2890052 00010F03
	s_and_b32 s82, s82, 0xffffff                               // 00000000467C: 8652FF52 00FFFFFF
	s_cmp_lt_u32 s82, s66                                      // 000000004684: BF0A4252
	s_cselect_b32 s21, s36, s60                                // 000000004688: 85153C24
	s_mov_b64 exec, s[20:21]                                   // 00000000468C: BEFE0114
	buffer_store_dword v55, v6, s[8:11], 0 offen               // 000000004690: E0701000 80023706
	s_mov_b64 exec, s[36:37]                                   // 000000004698: BEFE0124
	v_mov_b32_e32 v6, v46                                      // 00000000469C: 7E0C032E
	s_mov_b64 s[60:61], 0                                      // 0000000046A0: BEBC0180
	v_readlane_b32 s82, v3, 8                                  // 0000000046A4: D2890052 00011103
	s_and_b32 s82, s82, 0xffffff                               // 0000000046AC: 8652FF52 00FFFFFF
	s_cmp_lt_u32 s82, s66                                      // 0000000046B4: BF0A4252
	s_cselect_b32 s20, s36, s60                                // 0000000046B8: 85143C24
	v_readlane_b32 s82, v3, 9                                  // 0000000046BC: D2890052 00011303
	s_and_b32 s82, s82, 0xffffff                               // 0000000046C4: 8652FF52 00FFFFFF
	s_cmp_lt_u32 s82, s66                                      // 0000000046CC: BF0A4252
	s_cselect_b32 s21, s36, s60                                // 0000000046D0: 85153C24
	s_mov_b64 exec, s[20:21]                                   // 0000000046D4: BEFE0114
	buffer_store_dword v56, v6, s[8:11], 0 offen               // 0000000046D8: E0701000 80023806
	s_mov_b64 exec, s[36:37]                                   // 0000000046E0: BEFE0124
	v_mov_b32_e32 v6, v47                                      // 0000000046E4: 7E0C032F
	s_mov_b64 s[60:61], 0                                      // 0000000046E8: BEBC0180
	v_readlane_b32 s82, v3, 10                                 // 0000000046EC: D2890052 00011503
	s_and_b32 s82, s82, 0xffffff                               // 0000000046F4: 8652FF52 00FFFFFF
	s_cmp_lt_u32 s82, s66                                      // 0000000046FC: BF0A4252
	s_cselect_b32 s20, s36, s60                                // 000000004700: 85143C24
	v_readlane_b32 s82, v3, 11                                 // 000000004704: D2890052 00011703
	s_and_b32 s82, s82, 0xffffff                               // 00000000470C: 8652FF52 00FFFFFF
	s_cmp_lt_u32 s82, s66                                      // 000000004714: BF0A4252
	s_cselect_b32 s21, s36, s60                                // 000000004718: 85153C24
	s_mov_b64 exec, s[20:21]                                   // 00000000471C: BEFE0114
	buffer_store_dword v57, v6, s[8:11], 0 offen               // 000000004720: E0701000 80023906
	s_mov_b64 exec, s[36:37]                                   // 000000004728: BEFE0124
	s_branch label_11ED                                        // 00000000472C: BF820A9E

0000000000004730 <label_074C>:
	ds_write_b64 v20, v[52:53]                                 // 000000004730: D89A0000 00003414
	ds_write_b64 v20, v[56:57] offset:2176                     // 000000004738: D89A0880 00003814
	ds_write_b64 v20, v[60:61] offset:4352                     // 000000004740: D89A1100 00003C14
	v_lshrrev_b32_e32 v4, 5, v0                                // 000000004748: 20080085
	v_xor_b32_e32 v5, 1, v4                                    // 00000000474C: 2A0A0881
	s_mul_i32 s60, s65, 2                                      // 000000004750: 923C8241
	s_cmp_eq_u32 s88, 0                                        // 000000004754: BF068058
	s_cselect_b32 s61, 1, 4                                    // 000000004758: 853D8481
	s_mul_i32 s60, s61, s60                                    // 00000000475C: 923C3C3D
	v_readlane_b32 s82, v3, 0                                  // 000000004760: D2890052 00010103
	s_lshr_b32 s61, s82, 24                                    // 000000004768: 8F3D9852
	s_and_b32 s82, s82, 0xffffff                               // 00000000476C: 8652FF52 00FFFFFF
	s_mul_i32 s82, s82, s71                                    // 000000004774: 92524752
	s_mul_i32 s61, s60, s61                                    // 000000004778: 923D3D3C
	s_add_u32 s82, s82, s61                                    // 00000000477C: 80523D52
	v_mul_lo_u32 v6, v5, s82                                   // 000000004780: D2850006 0000A505
	v_readlane_b32 s82, v3, 1                                  // 000000004788: D2890052 00010303
	s_lshr_b32 s61, s82, 24                                    // 000000004790: 8F3D9852
	s_and_b32 s82, s82, 0xffffff                               // 000000004794: 8652FF52 00FFFFFF
	s_mul_i32 s82, s82, s71                                    // 00000000479C: 92524752
	s_mul_i32 s61, s60, s61                                    // 0000000047A0: 923D3D3C
	s_add_u32 s82, s82, s61                                    // 0000000047A4: 80523D52
	v_mul_lo_u32 v7, v4, s82                                   // 0000000047A8: D2850007 0000A504
	v_add_u32_e32 v42, v6, v7                                  // 0000000047B0: 68540F06
	v_readlane_b32 s82, v3, 2                                  // 0000000047B4: D2890052 00010503
	s_lshr_b32 s61, s82, 24                                    // 0000000047BC: 8F3D9852
	s_and_b32 s82, s82, 0xffffff                               // 0000000047C0: 8652FF52 00FFFFFF
	s_mul_i32 s82, s82, s71                                    // 0000000047C8: 92524752
	s_mul_i32 s61, s60, s61                                    // 0000000047CC: 923D3D3C
	s_add_u32 s82, s82, s61                                    // 0000000047D0: 80523D52
	v_mul_lo_u32 v6, v5, s82                                   // 0000000047D4: D2850006 0000A505
	v_readlane_b32 s82, v3, 3                                  // 0000000047DC: D2890052 00010703
	s_lshr_b32 s61, s82, 24                                    // 0000000047E4: 8F3D9852
	s_and_b32 s82, s82, 0xffffff                               // 0000000047E8: 8652FF52 00FFFFFF
	s_mul_i32 s82, s82, s71                                    // 0000000047F0: 92524752
	s_mul_i32 s61, s60, s61                                    // 0000000047F4: 923D3D3C
	s_add_u32 s82, s82, s61                                    // 0000000047F8: 80523D52
	v_mul_lo_u32 v7, v4, s82                                   // 0000000047FC: D2850007 0000A504
	v_add_u32_e32 v43, v6, v7                                  // 000000004804: 68560F06
	v_readlane_b32 s82, v3, 4                                  // 000000004808: D2890052 00010903
	s_lshr_b32 s61, s82, 24                                    // 000000004810: 8F3D9852
	s_and_b32 s82, s82, 0xffffff                               // 000000004814: 8652FF52 00FFFFFF
	s_mul_i32 s82, s82, s71                                    // 00000000481C: 92524752
	s_mul_i32 s61, s60, s61                                    // 000000004820: 923D3D3C
	s_add_u32 s82, s82, s61                                    // 000000004824: 80523D52
	v_mul_lo_u32 v6, v5, s82                                   // 000000004828: D2850006 0000A505
	v_readlane_b32 s82, v3, 5                                  // 000000004830: D2890052 00010B03
	s_lshr_b32 s61, s82, 24                                    // 000000004838: 8F3D9852
	s_and_b32 s82, s82, 0xffffff                               // 00000000483C: 8652FF52 00FFFFFF
	s_mul_i32 s82, s82, s71                                    // 000000004844: 92524752
	s_mul_i32 s61, s60, s61                                    // 000000004848: 923D3D3C
	s_add_u32 s82, s82, s61                                    // 00000000484C: 80523D52
	v_mul_lo_u32 v7, v4, s82                                   // 000000004850: D2850007 0000A504
	v_add_u32_e32 v44, v6, v7                                  // 000000004858: 68580F06
	v_readlane_b32 s82, v3, 6                                  // 00000000485C: D2890052 00010D03
	s_lshr_b32 s61, s82, 24                                    // 000000004864: 8F3D9852
	s_and_b32 s82, s82, 0xffffff                               // 000000004868: 8652FF52 00FFFFFF
	s_mul_i32 s82, s82, s71                                    // 000000004870: 92524752
	s_mul_i32 s61, s60, s61                                    // 000000004874: 923D3D3C
	s_add_u32 s82, s82, s61                                    // 000000004878: 80523D52
	v_mul_lo_u32 v6, v5, s82                                   // 00000000487C: D2850006 0000A505
	v_readlane_b32 s82, v3, 7                                  // 000000004884: D2890052 00010F03
	s_lshr_b32 s61, s82, 24                                    // 00000000488C: 8F3D9852
	s_and_b32 s82, s82, 0xffffff                               // 000000004890: 8652FF52 00FFFFFF
	s_mul_i32 s82, s82, s71                                    // 000000004898: 92524752
	s_mul_i32 s61, s60, s61                                    // 00000000489C: 923D3D3C
	s_add_u32 s82, s82, s61                                    // 0000000048A0: 80523D52
	v_mul_lo_u32 v7, v4, s82                                   // 0000000048A4: D2850007 0000A504
	v_add_u32_e32 v45, v6, v7                                  // 0000000048AC: 685A0F06
	v_readlane_b32 s82, v3, 8                                  // 0000000048B0: D2890052 00011103
	s_lshr_b32 s61, s82, 24                                    // 0000000048B8: 8F3D9852
	s_and_b32 s82, s82, 0xffffff                               // 0000000048BC: 8652FF52 00FFFFFF
	s_mul_i32 s82, s82, s71                                    // 0000000048C4: 92524752
	s_mul_i32 s61, s60, s61                                    // 0000000048C8: 923D3D3C
	s_add_u32 s82, s82, s61                                    // 0000000048CC: 80523D52
	v_mul_lo_u32 v6, v5, s82                                   // 0000000048D0: D2850006 0000A505
	v_readlane_b32 s82, v3, 9                                  // 0000000048D8: D2890052 00011303
	s_lshr_b32 s61, s82, 24                                    // 0000000048E0: 8F3D9852
	s_and_b32 s82, s82, 0xffffff                               // 0000000048E4: 8652FF52 00FFFFFF
	s_mul_i32 s82, s82, s71                                    // 0000000048EC: 92524752
	s_mul_i32 s61, s60, s61                                    // 0000000048F0: 923D3D3C
	s_add_u32 s82, s82, s61                                    // 0000000048F4: 80523D52
	v_mul_lo_u32 v7, v4, s82                                   // 0000000048F8: D2850007 0000A504
	v_add_u32_e32 v46, v6, v7                                  // 000000004900: 685C0F06
	v_readlane_b32 s82, v3, 10                                 // 000000004904: D2890052 00011503
	s_lshr_b32 s61, s82, 24                                    // 00000000490C: 8F3D9852
	s_and_b32 s82, s82, 0xffffff                               // 000000004910: 8652FF52 00FFFFFF
	s_mul_i32 s82, s82, s71                                    // 000000004918: 92524752
	s_mul_i32 s61, s60, s61                                    // 00000000491C: 923D3D3C
	s_add_u32 s82, s82, s61                                    // 000000004920: 80523D52
	v_mul_lo_u32 v6, v5, s82                                   // 000000004924: D2850006 0000A505
	v_readlane_b32 s82, v3, 11                                 // 00000000492C: D2890052 00011703
	s_lshr_b32 s61, s82, 24                                    // 000000004934: 8F3D9852
	s_and_b32 s82, s82, 0xffffff                               // 000000004938: 8652FF52 00FFFFFF
	s_mul_i32 s82, s82, s71                                    // 000000004940: 92524752
	s_mul_i32 s61, s60, s61                                    // 000000004944: 923D3D3C
	s_add_u32 s82, s82, s61                                    // 000000004948: 80523D52
	v_mul_lo_u32 v7, v4, s82                                   // 00000000494C: D2850007 0000A504
	v_add_u32_e32 v47, v6, v7                                  // 000000004954: 685E0F06
	v_and_b32_e32 v4, 31, v0                                   // 000000004958: 2608009F
	v_lshrrev_b32_e32 v4, 1, v4                                // 00000000495C: 20080881
	s_cmp_eq_u32 s88, 0                                        // 000000004960: BF068058
	s_cselect_b32 s61, 2, 4                                    // 000000004964: 853D8482
	v_mul_lo_u32 v4, v4, s61                                   // 000000004968: D2850004 00007B04
	v_and_b32_e64 v5, v0, 1                                    // 000000004970: D1130005 00010300
	v_add_u32_e32 v4, v4, v5                                   // 000000004978: 68080B04
	v_lshlrev_b32_e32 v4, 2, v4                                // 00000000497C: 24080882
	v_add_u32_e32 v42, v42, v4                                 // 000000004980: 6854092A
	v_add_u32_e32 v43, v43, v4                                 // 000000004984: 6856092B
	v_add_u32_e32 v44, v44, v4                                 // 000000004988: 6858092C
	v_add_u32_e32 v45, v45, v4                                 // 00000000498C: 685A092D
	v_add_u32_e32 v46, v46, v4                                 // 000000004990: 685C092E
	v_add_u32_e32 v47, v47, v4                                 // 000000004994: 685E092F
	s_waitcnt lgkmcnt(0)                                       // 000000004998: BF8CC07F
	s_barrier                                                  // 00000000499C: BF8A0000
	ds_read_b32 v52, v21                                       // 0000000049A0: D86C0000 34000015
	ds_read_b32 v53, v21 offset:64                             // 0000000049A8: D86C0040 35000015
	ds_read_b32 v56, v21 offset:2176                           // 0000000049B0: D86C0880 38000015
	ds_read_b32 v57, v21 offset:2240                           // 0000000049B8: D86C08C0 39000015
	ds_read_b32 v60, v21 offset:4352                           // 0000000049C0: D86C1100 3C000015
	ds_read_b32 v61, v21 offset:4416                           // 0000000049C8: D86C1140 3D000015
	s_waitcnt lgkmcnt(0)                                       // 0000000049D0: BF8CC07F
	s_mov_b32 s36, -1                                          // 0000000049D4: BEA400C1
	s_mov_b32 s37, -1                                          // 0000000049D8: BEA500C1
	v_mov_b32_e32 v7, 0                                        // 0000000049DC: 7E0E0280
	s_mov_b64 exec, s[36:37]                                   // 0000000049E0: BEFE0124
	v_mov_b32_e32 v6, v42                                      // 0000000049E4: 7E0C032A
	s_mov_b64 s[60:61], 0                                      // 0000000049E8: BEBC0180
	v_readlane_b32 s82, v3, 0                                  // 0000000049EC: D2890052 00010103
	s_and_b32 s82, s82, 0xffffff                               // 0000000049F4: 8652FF52 00FFFFFF
	s_cmp_lt_u32 s82, s66                                      // 0000000049FC: BF0A4252
	s_cselect_b32 s20, s36, s60                                // 000000004A00: 85143C24
	v_readlane_b32 s82, v3, 1                                  // 000000004A04: D2890052 00010303
	s_and_b32 s82, s82, 0xffffff                               // 000000004A0C: 8652FF52 00FFFFFF
	s_cmp_lt_u32 s82, s66                                      // 000000004A14: BF0A4252
	s_cselect_b32 s21, s36, s60                                // 000000004A18: 85153C24
	s_mov_b64 exec, s[20:21]                                   // 000000004A1C: BEFE0114
	global_atomic_add_f32 v6, v52, s[8:9]                      // 000000004A20: DD348000 00083406
	s_mov_b64 exec, s[36:37]                                   // 000000004A28: BEFE0124
	v_mov_b32_e32 v6, v43                                      // 000000004A2C: 7E0C032B
	s_mov_b64 s[60:61], 0                                      // 000000004A30: BEBC0180
	v_readlane_b32 s82, v3, 2                                  // 000000004A34: D2890052 00010503
	s_and_b32 s82, s82, 0xffffff                               // 000000004A3C: 8652FF52 00FFFFFF
	s_cmp_lt_u32 s82, s66                                      // 000000004A44: BF0A4252
	s_cselect_b32 s20, s36, s60                                // 000000004A48: 85143C24
	v_readlane_b32 s82, v3, 3                                  // 000000004A4C: D2890052 00010703
	s_and_b32 s82, s82, 0xffffff                               // 000000004A54: 8652FF52 00FFFFFF
	s_cmp_lt_u32 s82, s66                                      // 000000004A5C: BF0A4252
	s_cselect_b32 s21, s36, s60                                // 000000004A60: 85153C24
	s_mov_b64 exec, s[20:21]                                   // 000000004A64: BEFE0114
	global_atomic_add_f32 v6, v53, s[8:9]                      // 000000004A68: DD348000 00083506
	s_mov_b64 exec, s[36:37]                                   // 000000004A70: BEFE0124
	v_mov_b32_e32 v6, v44                                      // 000000004A74: 7E0C032C
	s_mov_b64 s[60:61], 0                                      // 000000004A78: BEBC0180
	v_readlane_b32 s82, v3, 4                                  // 000000004A7C: D2890052 00010903
	s_and_b32 s82, s82, 0xffffff                               // 000000004A84: 8652FF52 00FFFFFF
	s_cmp_lt_u32 s82, s66                                      // 000000004A8C: BF0A4252
	s_cselect_b32 s20, s36, s60                                // 000000004A90: 85143C24
	v_readlane_b32 s82, v3, 5                                  // 000000004A94: D2890052 00010B03
	s_and_b32 s82, s82, 0xffffff                               // 000000004A9C: 8652FF52 00FFFFFF
	s_cmp_lt_u32 s82, s66                                      // 000000004AA4: BF0A4252
	s_cselect_b32 s21, s36, s60                                // 000000004AA8: 85153C24
	s_mov_b64 exec, s[20:21]                                   // 000000004AAC: BEFE0114
	global_atomic_add_f32 v6, v56, s[8:9]                      // 000000004AB0: DD348000 00083806
	s_mov_b64 exec, s[36:37]                                   // 000000004AB8: BEFE0124
	v_mov_b32_e32 v6, v45                                      // 000000004ABC: 7E0C032D
	s_mov_b64 s[60:61], 0                                      // 000000004AC0: BEBC0180
	v_readlane_b32 s82, v3, 6                                  // 000000004AC4: D2890052 00010D03
	s_and_b32 s82, s82, 0xffffff                               // 000000004ACC: 8652FF52 00FFFFFF
	s_cmp_lt_u32 s82, s66                                      // 000000004AD4: BF0A4252
	s_cselect_b32 s20, s36, s60                                // 000000004AD8: 85143C24
	v_readlane_b32 s82, v3, 7                                  // 000000004ADC: D2890052 00010F03
	s_and_b32 s82, s82, 0xffffff                               // 000000004AE4: 8652FF52 00FFFFFF
	s_cmp_lt_u32 s82, s66                                      // 000000004AEC: BF0A4252
	s_cselect_b32 s21, s36, s60                                // 000000004AF0: 85153C24
	s_mov_b64 exec, s[20:21]                                   // 000000004AF4: BEFE0114
	global_atomic_add_f32 v6, v57, s[8:9]                      // 000000004AF8: DD348000 00083906
	s_mov_b64 exec, s[36:37]                                   // 000000004B00: BEFE0124
	v_mov_b32_e32 v6, v46                                      // 000000004B04: 7E0C032E
	s_mov_b64 s[60:61], 0                                      // 000000004B08: BEBC0180
	v_readlane_b32 s82, v3, 8                                  // 000000004B0C: D2890052 00011103
	s_and_b32 s82, s82, 0xffffff                               // 000000004B14: 8652FF52 00FFFFFF
	s_cmp_lt_u32 s82, s66                                      // 000000004B1C: BF0A4252
	s_cselect_b32 s20, s36, s60                                // 000000004B20: 85143C24
	v_readlane_b32 s82, v3, 9                                  // 000000004B24: D2890052 00011303
	s_and_b32 s82, s82, 0xffffff                               // 000000004B2C: 8652FF52 00FFFFFF
	s_cmp_lt_u32 s82, s66                                      // 000000004B34: BF0A4252
	s_cselect_b32 s21, s36, s60                                // 000000004B38: 85153C24
	s_mov_b64 exec, s[20:21]                                   // 000000004B3C: BEFE0114
	global_atomic_add_f32 v6, v60, s[8:9]                      // 000000004B40: DD348000 00083C06
	s_mov_b64 exec, s[36:37]                                   // 000000004B48: BEFE0124
	v_mov_b32_e32 v6, v47                                      // 000000004B4C: 7E0C032F
	s_mov_b64 s[60:61], 0                                      // 000000004B50: BEBC0180
	v_readlane_b32 s82, v3, 10                                 // 000000004B54: D2890052 00011503
	s_and_b32 s82, s82, 0xffffff                               // 000000004B5C: 8652FF52 00FFFFFF
	s_cmp_lt_u32 s82, s66                                      // 000000004B64: BF0A4252
	s_cselect_b32 s20, s36, s60                                // 000000004B68: 85143C24
	v_readlane_b32 s82, v3, 11                                 // 000000004B6C: D2890052 00011703
	s_and_b32 s82, s82, 0xffffff                               // 000000004B74: 8652FF52 00FFFFFF
	s_cmp_lt_u32 s82, s66                                      // 000000004B7C: BF0A4252
	s_cselect_b32 s21, s36, s60                                // 000000004B80: 85153C24
	s_mov_b64 exec, s[20:21]                                   // 000000004B84: BEFE0114
	global_atomic_add_f32 v6, v61, s[8:9]                      // 000000004B88: DD348000 00083D06
	s_mov_b64 exec, s[36:37]                                   // 000000004B90: BEFE0124
	ds_write_b64 v20, v[54:55]                                 // 000000004B94: D89A0000 00003614
	ds_write_b64 v20, v[58:59] offset:2176                     // 000000004B9C: D89A0880 00003A14
	ds_write_b64 v20, v[62:63] offset:4352                     // 000000004BA4: D89A1100 00003E14
	s_waitcnt lgkmcnt(0)                                       // 000000004BAC: BF8CC07F
	s_barrier                                                  // 000000004BB0: BF8A0000
	ds_read_b32 v54, v21                                       // 000000004BB4: D86C0000 36000015
	ds_read_b32 v55, v21 offset:64                             // 000000004BBC: D86C0040 37000015
	ds_read_b32 v58, v21 offset:2176                           // 000000004BC4: D86C0880 3A000015
	ds_read_b32 v59, v21 offset:2240                           // 000000004BCC: D86C08C0 3B000015
	ds_read_b32 v62, v21 offset:4352                           // 000000004BD4: D86C1100 3E000015
	ds_read_b32 v63, v21 offset:4416                           // 000000004BDC: D86C1140 3F000015
	s_waitcnt lgkmcnt(0)                                       // 000000004BE4: BF8CC07F
	v_mov_b32_e32 v7, 0                                        // 000000004BE8: 7E0E0280
	s_mov_b64 exec, s[36:37]                                   // 000000004BEC: BEFE0124
	v_mov_b32_e32 v6, v42                                      // 000000004BF0: 7E0C032A
	s_mov_b64 s[60:61], 0                                      // 000000004BF4: BEBC0180
	v_readlane_b32 s82, v3, 0                                  // 000000004BF8: D2890052 00010103
	s_and_b32 s82, s82, 0xffffff                               // 000000004C00: 8652FF52 00FFFFFF
	s_cmp_lt_u32 s82, s66                                      // 000000004C08: BF0A4252
	s_cselect_b32 s20, s36, s60                                // 000000004C0C: 85143C24
	v_readlane_b32 s82, v3, 1                                  // 000000004C10: D2890052 00010303
	s_and_b32 s82, s82, 0xffffff                               // 000000004C18: 8652FF52 00FFFFFF
	s_cmp_lt_u32 s82, s66                                      // 000000004C20: BF0A4252
	s_cselect_b32 s21, s36, s60                                // 000000004C24: 85153C24
	s_mov_b64 exec, s[20:21]                                   // 000000004C28: BEFE0114
	global_atomic_add_f32 v6, v54, s[8:9] offset:8             // 000000004C2C: DD348008 00083606
	s_mov_b64 exec, s[36:37]                                   // 000000004C34: BEFE0124
	v_mov_b32_e32 v6, v43                                      // 000000004C38: 7E0C032B
	s_mov_b64 s[60:61], 0                                      // 000000004C3C: BEBC0180
	v_readlane_b32 s82, v3, 2                                  // 000000004C40: D2890052 00010503
	s_and_b32 s82, s82, 0xffffff                               // 000000004C48: 8652FF52 00FFFFFF
	s_cmp_lt_u32 s82, s66                                      // 000000004C50: BF0A4252
	s_cselect_b32 s20, s36, s60                                // 000000004C54: 85143C24
	v_readlane_b32 s82, v3, 3                                  // 000000004C58: D2890052 00010703
	s_and_b32 s82, s82, 0xffffff                               // 000000004C60: 8652FF52 00FFFFFF
	s_cmp_lt_u32 s82, s66                                      // 000000004C68: BF0A4252
	s_cselect_b32 s21, s36, s60                                // 000000004C6C: 85153C24
	s_mov_b64 exec, s[20:21]                                   // 000000004C70: BEFE0114
	global_atomic_add_f32 v6, v55, s[8:9] offset:8             // 000000004C74: DD348008 00083706
	s_mov_b64 exec, s[36:37]                                   // 000000004C7C: BEFE0124
	v_mov_b32_e32 v6, v44                                      // 000000004C80: 7E0C032C
	s_mov_b64 s[60:61], 0                                      // 000000004C84: BEBC0180
	v_readlane_b32 s82, v3, 4                                  // 000000004C88: D2890052 00010903
	s_and_b32 s82, s82, 0xffffff                               // 000000004C90: 8652FF52 00FFFFFF
	s_cmp_lt_u32 s82, s66                                      // 000000004C98: BF0A4252
	s_cselect_b32 s20, s36, s60                                // 000000004C9C: 85143C24
	v_readlane_b32 s82, v3, 5                                  // 000000004CA0: D2890052 00010B03
	s_and_b32 s82, s82, 0xffffff                               // 000000004CA8: 8652FF52 00FFFFFF
	s_cmp_lt_u32 s82, s66                                      // 000000004CB0: BF0A4252
	s_cselect_b32 s21, s36, s60                                // 000000004CB4: 85153C24
	s_mov_b64 exec, s[20:21]                                   // 000000004CB8: BEFE0114
	global_atomic_add_f32 v6, v58, s[8:9] offset:8             // 000000004CBC: DD348008 00083A06
	s_mov_b64 exec, s[36:37]                                   // 000000004CC4: BEFE0124
	v_mov_b32_e32 v6, v45                                      // 000000004CC8: 7E0C032D
	s_mov_b64 s[60:61], 0                                      // 000000004CCC: BEBC0180
	v_readlane_b32 s82, v3, 6                                  // 000000004CD0: D2890052 00010D03
	s_and_b32 s82, s82, 0xffffff                               // 000000004CD8: 8652FF52 00FFFFFF
	s_cmp_lt_u32 s82, s66                                      // 000000004CE0: BF0A4252
	s_cselect_b32 s20, s36, s60                                // 000000004CE4: 85143C24
	v_readlane_b32 s82, v3, 7                                  // 000000004CE8: D2890052 00010F03
	s_and_b32 s82, s82, 0xffffff                               // 000000004CF0: 8652FF52 00FFFFFF
	s_cmp_lt_u32 s82, s66                                      // 000000004CF8: BF0A4252
	s_cselect_b32 s21, s36, s60                                // 000000004CFC: 85153C24
	s_mov_b64 exec, s[20:21]                                   // 000000004D00: BEFE0114
	global_atomic_add_f32 v6, v59, s[8:9] offset:8             // 000000004D04: DD348008 00083B06
	s_mov_b64 exec, s[36:37]                                   // 000000004D0C: BEFE0124
	v_mov_b32_e32 v6, v46                                      // 000000004D10: 7E0C032E
	s_mov_b64 s[60:61], 0                                      // 000000004D14: BEBC0180
	v_readlane_b32 s82, v3, 8                                  // 000000004D18: D2890052 00011103
	s_and_b32 s82, s82, 0xffffff                               // 000000004D20: 8652FF52 00FFFFFF
	s_cmp_lt_u32 s82, s66                                      // 000000004D28: BF0A4252
	s_cselect_b32 s20, s36, s60                                // 000000004D2C: 85143C24
	v_readlane_b32 s82, v3, 9                                  // 000000004D30: D2890052 00011303
	s_and_b32 s82, s82, 0xffffff                               // 000000004D38: 8652FF52 00FFFFFF
	s_cmp_lt_u32 s82, s66                                      // 000000004D40: BF0A4252
	s_cselect_b32 s21, s36, s60                                // 000000004D44: 85153C24
	s_mov_b64 exec, s[20:21]                                   // 000000004D48: BEFE0114
	global_atomic_add_f32 v6, v62, s[8:9] offset:8             // 000000004D4C: DD348008 00083E06
	s_mov_b64 exec, s[36:37]                                   // 000000004D54: BEFE0124
	v_mov_b32_e32 v6, v47                                      // 000000004D58: 7E0C032F
	s_mov_b64 s[60:61], 0                                      // 000000004D5C: BEBC0180
	v_readlane_b32 s82, v3, 10                                 // 000000004D60: D2890052 00011503
	s_and_b32 s82, s82, 0xffffff                               // 000000004D68: 8652FF52 00FFFFFF
	s_cmp_lt_u32 s82, s66                                      // 000000004D70: BF0A4252
	s_cselect_b32 s20, s36, s60                                // 000000004D74: 85143C24
	v_readlane_b32 s82, v3, 11                                 // 000000004D78: D2890052 00011703
	s_and_b32 s82, s82, 0xffffff                               // 000000004D80: 8652FF52 00FFFFFF
	s_cmp_lt_u32 s82, s66                                      // 000000004D88: BF0A4252
	s_cselect_b32 s21, s36, s60                                // 000000004D8C: 85153C24
	s_mov_b64 exec, s[20:21]                                   // 000000004D90: BEFE0114
	global_atomic_add_f32 v6, v63, s[8:9] offset:8             // 000000004D94: DD348008 00083F06
	s_mov_b64 exec, s[36:37]                                   // 000000004D9C: BEFE0124
	ds_write_b64 v20, v[64:65]                                 // 000000004DA0: D89A0000 00004014
	ds_write_b64 v20, v[68:69] offset:2176                     // 000000004DA8: D89A0880 00004414
	ds_write_b64 v20, v[72:73] offset:4352                     // 000000004DB0: D89A1100 00004814
	s_waitcnt lgkmcnt(0)                                       // 000000004DB8: BF8CC07F
	s_barrier                                                  // 000000004DBC: BF8A0000
	ds_read_b32 v64, v21                                       // 000000004DC0: D86C0000 40000015
	ds_read_b32 v65, v21 offset:64                             // 000000004DC8: D86C0040 41000015
	ds_read_b32 v68, v21 offset:2176                           // 000000004DD0: D86C0880 44000015
	ds_read_b32 v69, v21 offset:2240                           // 000000004DD8: D86C08C0 45000015
	ds_read_b32 v72, v21 offset:4352                           // 000000004DE0: D86C1100 48000015
	ds_read_b32 v73, v21 offset:4416                           // 000000004DE8: D86C1140 49000015
	s_mul_i32 s60, s65, 4                                      // 000000004DF0: 923C8441
	s_add_u32 s8, s60, s8                                      // 000000004DF4: 8008083C
	s_addc_u32 s9, 0, s9                                       // 000000004DF8: 82090980
	s_waitcnt lgkmcnt(0)                                       // 000000004DFC: BF8CC07F
	v_mov_b32_e32 v7, 0                                        // 000000004E00: 7E0E0280
	s_mov_b64 exec, s[36:37]                                   // 000000004E04: BEFE0124
	v_mov_b32_e32 v6, v42                                      // 000000004E08: 7E0C032A
	s_mov_b64 s[60:61], 0                                      // 000000004E0C: BEBC0180
	v_readlane_b32 s82, v3, 0                                  // 000000004E10: D2890052 00010103
	s_and_b32 s82, s82, 0xffffff                               // 000000004E18: 8652FF52 00FFFFFF
	s_cmp_lt_u32 s82, s66                                      // 000000004E20: BF0A4252
	s_cselect_b32 s20, s36, s60                                // 000000004E24: 85143C24
	v_readlane_b32 s82, v3, 1                                  // 000000004E28: D2890052 00010303
	s_and_b32 s82, s82, 0xffffff                               // 000000004E30: 8652FF52 00FFFFFF
	s_cmp_lt_u32 s82, s66                                      // 000000004E38: BF0A4252
	s_cselect_b32 s21, s36, s60                                // 000000004E3C: 85153C24
	s_mov_b64 exec, s[20:21]                                   // 000000004E40: BEFE0114
	global_atomic_add_f32 v6, v64, s[8:9]                      // 000000004E44: DD348000 00084006
	s_mov_b64 exec, s[36:37]                                   // 000000004E4C: BEFE0124
	v_mov_b32_e32 v6, v43                                      // 000000004E50: 7E0C032B
	s_mov_b64 s[60:61], 0                                      // 000000004E54: BEBC0180
	v_readlane_b32 s82, v3, 2                                  // 000000004E58: D2890052 00010503
	s_and_b32 s82, s82, 0xffffff                               // 000000004E60: 8652FF52 00FFFFFF
	s_cmp_lt_u32 s82, s66                                      // 000000004E68: BF0A4252
	s_cselect_b32 s20, s36, s60                                // 000000004E6C: 85143C24
	v_readlane_b32 s82, v3, 3                                  // 000000004E70: D2890052 00010703
	s_and_b32 s82, s82, 0xffffff                               // 000000004E78: 8652FF52 00FFFFFF
	s_cmp_lt_u32 s82, s66                                      // 000000004E80: BF0A4252
	s_cselect_b32 s21, s36, s60                                // 000000004E84: 85153C24
	s_mov_b64 exec, s[20:21]                                   // 000000004E88: BEFE0114
	global_atomic_add_f32 v6, v65, s[8:9]                      // 000000004E8C: DD348000 00084106
	s_mov_b64 exec, s[36:37]                                   // 000000004E94: BEFE0124
	v_mov_b32_e32 v6, v44                                      // 000000004E98: 7E0C032C
	s_mov_b64 s[60:61], 0                                      // 000000004E9C: BEBC0180
	v_readlane_b32 s82, v3, 4                                  // 000000004EA0: D2890052 00010903
	s_and_b32 s82, s82, 0xffffff                               // 000000004EA8: 8652FF52 00FFFFFF
	s_cmp_lt_u32 s82, s66                                      // 000000004EB0: BF0A4252
	s_cselect_b32 s20, s36, s60                                // 000000004EB4: 85143C24
	v_readlane_b32 s82, v3, 5                                  // 000000004EB8: D2890052 00010B03
	s_and_b32 s82, s82, 0xffffff                               // 000000004EC0: 8652FF52 00FFFFFF
	s_cmp_lt_u32 s82, s66                                      // 000000004EC8: BF0A4252
	s_cselect_b32 s21, s36, s60                                // 000000004ECC: 85153C24
	s_mov_b64 exec, s[20:21]                                   // 000000004ED0: BEFE0114
	global_atomic_add_f32 v6, v68, s[8:9]                      // 000000004ED4: DD348000 00084406
	s_mov_b64 exec, s[36:37]                                   // 000000004EDC: BEFE0124
	v_mov_b32_e32 v6, v45                                      // 000000004EE0: 7E0C032D
	s_mov_b64 s[60:61], 0                                      // 000000004EE4: BEBC0180
	v_readlane_b32 s82, v3, 6                                  // 000000004EE8: D2890052 00010D03
	s_and_b32 s82, s82, 0xffffff                               // 000000004EF0: 8652FF52 00FFFFFF
	s_cmp_lt_u32 s82, s66                                      // 000000004EF8: BF0A4252
	s_cselect_b32 s20, s36, s60                                // 000000004EFC: 85143C24
	v_readlane_b32 s82, v3, 7                                  // 000000004F00: D2890052 00010F03
	s_and_b32 s82, s82, 0xffffff                               // 000000004F08: 8652FF52 00FFFFFF
	s_cmp_lt_u32 s82, s66                                      // 000000004F10: BF0A4252
	s_cselect_b32 s21, s36, s60                                // 000000004F14: 85153C24
	s_mov_b64 exec, s[20:21]                                   // 000000004F18: BEFE0114
	global_atomic_add_f32 v6, v69, s[8:9]                      // 000000004F1C: DD348000 00084506
	s_mov_b64 exec, s[36:37]                                   // 000000004F24: BEFE0124
	v_mov_b32_e32 v6, v46                                      // 000000004F28: 7E0C032E
	s_mov_b64 s[60:61], 0                                      // 000000004F2C: BEBC0180
	v_readlane_b32 s82, v3, 8                                  // 000000004F30: D2890052 00011103
	s_and_b32 s82, s82, 0xffffff                               // 000000004F38: 8652FF52 00FFFFFF
	s_cmp_lt_u32 s82, s66                                      // 000000004F40: BF0A4252
	s_cselect_b32 s20, s36, s60                                // 000000004F44: 85143C24
	v_readlane_b32 s82, v3, 9                                  // 000000004F48: D2890052 00011303
	s_and_b32 s82, s82, 0xffffff                               // 000000004F50: 8652FF52 00FFFFFF
	s_cmp_lt_u32 s82, s66                                      // 000000004F58: BF0A4252
	s_cselect_b32 s21, s36, s60                                // 000000004F5C: 85153C24
	s_mov_b64 exec, s[20:21]                                   // 000000004F60: BEFE0114
	global_atomic_add_f32 v6, v72, s[8:9]                      // 000000004F64: DD348000 00084806
	s_mov_b64 exec, s[36:37]                                   // 000000004F6C: BEFE0124
	v_mov_b32_e32 v6, v47                                      // 000000004F70: 7E0C032F
	s_mov_b64 s[60:61], 0                                      // 000000004F74: BEBC0180
	v_readlane_b32 s82, v3, 10                                 // 000000004F78: D2890052 00011503
	s_and_b32 s82, s82, 0xffffff                               // 000000004F80: 8652FF52 00FFFFFF
	s_cmp_lt_u32 s82, s66                                      // 000000004F88: BF0A4252
	s_cselect_b32 s20, s36, s60                                // 000000004F8C: 85143C24
	v_readlane_b32 s82, v3, 11                                 // 000000004F90: D2890052 00011703
	s_and_b32 s82, s82, 0xffffff                               // 000000004F98: 8652FF52 00FFFFFF
	s_cmp_lt_u32 s82, s66                                      // 000000004FA0: BF0A4252
	s_cselect_b32 s21, s36, s60                                // 000000004FA4: 85153C24
	s_mov_b64 exec, s[20:21]                                   // 000000004FA8: BEFE0114
	global_atomic_add_f32 v6, v73, s[8:9]                      // 000000004FAC: DD348000 00084906
	s_mov_b64 exec, s[36:37]                                   // 000000004FB4: BEFE0124
	ds_write_b64 v20, v[66:67]                                 // 000000004FB8: D89A0000 00004214
	ds_write_b64 v20, v[70:71] offset:2176                     // 000000004FC0: D89A0880 00004614
	ds_write_b64 v20, v[74:75] offset:4352                     // 000000004FC8: D89A1100 00004A14
	s_waitcnt lgkmcnt(0)                                       // 000000004FD0: BF8CC07F
	s_barrier                                                  // 000000004FD4: BF8A0000
	ds_read_b32 v66, v21                                       // 000000004FD8: D86C0000 42000015
	ds_read_b32 v67, v21 offset:64                             // 000000004FE0: D86C0040 43000015
	ds_read_b32 v70, v21 offset:2176                           // 000000004FE8: D86C0880 46000015
	ds_read_b32 v71, v21 offset:2240                           // 000000004FF0: D86C08C0 47000015
	ds_read_b32 v74, v21 offset:4352                           // 000000004FF8: D86C1100 4A000015
	ds_read_b32 v75, v21 offset:4416                           // 000000005000: D86C1140 4B000015
	s_waitcnt lgkmcnt(0)                                       // 000000005008: BF8CC07F
	v_mov_b32_e32 v7, 0                                        // 00000000500C: 7E0E0280
	s_mov_b64 exec, s[36:37]                                   // 000000005010: BEFE0124
	v_mov_b32_e32 v6, v42                                      // 000000005014: 7E0C032A
	s_mov_b64 s[60:61], 0                                      // 000000005018: BEBC0180
	v_readlane_b32 s82, v3, 0                                  // 00000000501C: D2890052 00010103
	s_and_b32 s82, s82, 0xffffff                               // 000000005024: 8652FF52 00FFFFFF
	s_cmp_lt_u32 s82, s66                                      // 00000000502C: BF0A4252
	s_cselect_b32 s20, s36, s60                                // 000000005030: 85143C24
	v_readlane_b32 s82, v3, 1                                  // 000000005034: D2890052 00010303
	s_and_b32 s82, s82, 0xffffff                               // 00000000503C: 8652FF52 00FFFFFF
	s_cmp_lt_u32 s82, s66                                      // 000000005044: BF0A4252
	s_cselect_b32 s21, s36, s60                                // 000000005048: 85153C24
	s_mov_b64 exec, s[20:21]                                   // 00000000504C: BEFE0114
	global_atomic_add_f32 v6, v66, s[8:9] offset:8             // 000000005050: DD348008 00084206
	s_mov_b64 exec, s[36:37]                                   // 000000005058: BEFE0124
	v_mov_b32_e32 v6, v43                                      // 00000000505C: 7E0C032B
	s_mov_b64 s[60:61], 0                                      // 000000005060: BEBC0180
	v_readlane_b32 s82, v3, 2                                  // 000000005064: D2890052 00010503
	s_and_b32 s82, s82, 0xffffff                               // 00000000506C: 8652FF52 00FFFFFF
	s_cmp_lt_u32 s82, s66                                      // 000000005074: BF0A4252
	s_cselect_b32 s20, s36, s60                                // 000000005078: 85143C24
	v_readlane_b32 s82, v3, 3                                  // 00000000507C: D2890052 00010703
	s_and_b32 s82, s82, 0xffffff                               // 000000005084: 8652FF52 00FFFFFF
	s_cmp_lt_u32 s82, s66                                      // 00000000508C: BF0A4252
	s_cselect_b32 s21, s36, s60                                // 000000005090: 85153C24
	s_mov_b64 exec, s[20:21]                                   // 000000005094: BEFE0114
	global_atomic_add_f32 v6, v67, s[8:9] offset:8             // 000000005098: DD348008 00084306
	s_mov_b64 exec, s[36:37]                                   // 0000000050A0: BEFE0124
	v_mov_b32_e32 v6, v44                                      // 0000000050A4: 7E0C032C
	s_mov_b64 s[60:61], 0                                      // 0000000050A8: BEBC0180
	v_readlane_b32 s82, v3, 4                                  // 0000000050AC: D2890052 00010903
	s_and_b32 s82, s82, 0xffffff                               // 0000000050B4: 8652FF52 00FFFFFF
	s_cmp_lt_u32 s82, s66                                      // 0000000050BC: BF0A4252
	s_cselect_b32 s20, s36, s60                                // 0000000050C0: 85143C24
	v_readlane_b32 s82, v3, 5                                  // 0000000050C4: D2890052 00010B03
	s_and_b32 s82, s82, 0xffffff                               // 0000000050CC: 8652FF52 00FFFFFF
	s_cmp_lt_u32 s82, s66                                      // 0000000050D4: BF0A4252
	s_cselect_b32 s21, s36, s60                                // 0000000050D8: 85153C24
	s_mov_b64 exec, s[20:21]                                   // 0000000050DC: BEFE0114
	global_atomic_add_f32 v6, v70, s[8:9] offset:8             // 0000000050E0: DD348008 00084606
	s_mov_b64 exec, s[36:37]                                   // 0000000050E8: BEFE0124
	v_mov_b32_e32 v6, v45                                      // 0000000050EC: 7E0C032D
	s_mov_b64 s[60:61], 0                                      // 0000000050F0: BEBC0180
	v_readlane_b32 s82, v3, 6                                  // 0000000050F4: D2890052 00010D03
	s_and_b32 s82, s82, 0xffffff                               // 0000000050FC: 8652FF52 00FFFFFF
	s_cmp_lt_u32 s82, s66                                      // 000000005104: BF0A4252
	s_cselect_b32 s20, s36, s60                                // 000000005108: 85143C24
	v_readlane_b32 s82, v3, 7                                  // 00000000510C: D2890052 00010F03
	s_and_b32 s82, s82, 0xffffff                               // 000000005114: 8652FF52 00FFFFFF
	s_cmp_lt_u32 s82, s66                                      // 00000000511C: BF0A4252
	s_cselect_b32 s21, s36, s60                                // 000000005120: 85153C24
	s_mov_b64 exec, s[20:21]                                   // 000000005124: BEFE0114
	global_atomic_add_f32 v6, v71, s[8:9] offset:8             // 000000005128: DD348008 00084706
	s_mov_b64 exec, s[36:37]                                   // 000000005130: BEFE0124
	v_mov_b32_e32 v6, v46                                      // 000000005134: 7E0C032E
	s_mov_b64 s[60:61], 0                                      // 000000005138: BEBC0180
	v_readlane_b32 s82, v3, 8                                  // 00000000513C: D2890052 00011103
	s_and_b32 s82, s82, 0xffffff                               // 000000005144: 8652FF52 00FFFFFF
	s_cmp_lt_u32 s82, s66                                      // 00000000514C: BF0A4252
	s_cselect_b32 s20, s36, s60                                // 000000005150: 85143C24
	v_readlane_b32 s82, v3, 9                                  // 000000005154: D2890052 00011303
	s_and_b32 s82, s82, 0xffffff                               // 00000000515C: 8652FF52 00FFFFFF
	s_cmp_lt_u32 s82, s66                                      // 000000005164: BF0A4252
	s_cselect_b32 s21, s36, s60                                // 000000005168: 85153C24
	s_mov_b64 exec, s[20:21]                                   // 00000000516C: BEFE0114
	global_atomic_add_f32 v6, v74, s[8:9] offset:8             // 000000005170: DD348008 00084A06
	s_mov_b64 exec, s[36:37]                                   // 000000005178: BEFE0124
	v_mov_b32_e32 v6, v47                                      // 00000000517C: 7E0C032F
	s_mov_b64 s[60:61], 0                                      // 000000005180: BEBC0180
	v_readlane_b32 s82, v3, 10                                 // 000000005184: D2890052 00011503
	s_and_b32 s82, s82, 0xffffff                               // 00000000518C: 8652FF52 00FFFFFF
	s_cmp_lt_u32 s82, s66                                      // 000000005194: BF0A4252
	s_cselect_b32 s20, s36, s60                                // 000000005198: 85143C24
	v_readlane_b32 s82, v3, 11                                 // 00000000519C: D2890052 00011703
	s_and_b32 s82, s82, 0xffffff                               // 0000000051A4: 8652FF52 00FFFFFF
	s_cmp_lt_u32 s82, s66                                      // 0000000051AC: BF0A4252
	s_cselect_b32 s21, s36, s60                                // 0000000051B0: 85153C24
	s_mov_b64 exec, s[20:21]                                   // 0000000051B4: BEFE0114
	global_atomic_add_f32 v6, v75, s[8:9] offset:8             // 0000000051B8: DD348008 00084B06
	s_mov_b64 exec, s[36:37]                                   // 0000000051C0: BEFE0124
	s_branch label_11ED                                        // 0000000051C4: BF8207F8

00000000000051c8 <label_09F5>:
	s_waitcnt vmcnt(8) lgkmcnt(0)                              // 0000000051C8: BF8C0078
	v_mfma_f32_16x16x32_fp8_fp8 v[52:55], a[48:49], a[0:1], v[52:55]// 0000000051CC: D3F30034 1CD20130
	buffer_load_dwordx4 a[64:67], v48, s[24:27], 0 offen       // 0000000051D4: E05C1000 80864030
	v_mfma_f32_16x16x32_fp8_fp8 v[52:55], a[50:51], a[2:3], v[52:55]// 0000000051DC: D3F30034 1CD20532
	v_mfma_f32_16x16x32_fp8_fp8 v[52:55], a[52:53], a[4:5], v[52:55]// 0000000051E4: D3F30034 1CD20934
	v_mfma_f32_16x16x32_fp8_fp8 v[52:55], a[54:55], a[6:7], v[52:55]// 0000000051EC: D3F30034 1CD20D36
	v_mfma_f32_16x16x32_fp8_fp8 v[56:59], a[48:49], a[8:9], v[56:59]// 0000000051F4: D3F30038 1CE21130
	buffer_load_dwordx4 a[68:71], v48, s[24:27], 0 offen offset:1024// 0000000051FC: E05C1400 80864430
	buffer_load_dword v42, s[20:23], 0 offen lds               // 000000005204: E0511000 8005002A
	s_add_u32 m0, 0x100, s50                                   // 00000000520C: 807C32FF 00000100
	v_mfma_f32_16x16x32_fp8_fp8 v[56:59], a[50:51], a[10:11], v[56:59]// 000000005214: D3F30038 1CE21532
	v_mfma_f32_16x16x32_fp8_fp8 v[56:59], a[52:53], a[12:13], v[56:59]// 00000000521C: D3F30038 1CE21934
	buffer_load_dword v43, s[20:23], 0 offen lds               // 000000005224: E0511000 8005002B
	s_add_u32 m0, 0x200, s50                                   // 00000000522C: 807C32FF 00000200
	v_mfma_f32_16x16x32_fp8_fp8 v[56:59], a[54:55], a[14:15], v[56:59]// 000000005234: D3F30038 1CE21D36
	v_mfma_f32_16x16x32_fp8_fp8 v[60:63], a[48:49], a[16:17], v[60:63]// 00000000523C: D3F3003C 1CF22130
	buffer_load_dword v44, s[20:23], 0 offen lds               // 000000005244: E0511000 8005002C
	s_add_u32 m0, 0x300, s50                                   // 00000000524C: 807C32FF 00000300
	v_mfma_f32_16x16x32_fp8_fp8 v[60:63], a[50:51], a[18:19], v[60:63]// 000000005254: D3F3003C 1CF22532
	v_mfma_f32_16x16x32_fp8_fp8 v[60:63], a[52:53], a[20:21], v[60:63]// 00000000525C: D3F3003C 1CF22934
	buffer_load_dword v45, s[20:23], 0 offen lds               // 000000005264: E0511000 8005002D
	s_add_u32 m0, 0x400, s50                                   // 00000000526C: 807C32FF 00000400
	v_mfma_f32_16x16x32_fp8_fp8 v[60:63], a[54:55], a[22:23], v[60:63]// 000000005274: D3F3003C 1CF22D36
	buffer_load_dword v46, s[20:23], 0 offen lds               // 00000000527C: E0511000 8005002E
	s_add_u32 m0, 0x500, s50                                   // 000000005284: 807C32FF 00000500
	buffer_load_dword v47, s[20:23], 0 offen lds               // 00000000528C: E0511000 8005002F
	s_add_u32 m0, 0, s48                                       // 000000005294: 807C3080
	s_waitcnt vmcnt(8)                                         // 000000005298: BF8C0F78
	s_barrier                                                  // 00000000529C: BF8A0000
	v_mfma_f32_16x16x32_fp8_fp8 v[64:67], a[56:57], a[0:1], v[64:67]// 0000000052A0: D3F30040 1D020138
	buffer_load_dwordx4 a[48:51], v48, s[84:87], 0 offen       // 0000000052A8: E05C1000 80953030
	v_mfma_f32_16x16x32_fp8_fp8 v[64:67], a[58:59], a[2:3], v[64:67]// 0000000052B0: D3F30040 1D02053A
	v_mfma_f32_16x16x32_fp8_fp8 v[64:67], a[60:61], a[4:5], v[64:67]// 0000000052B8: D3F30040 1D02093C
	ds_read_b128 a[24:27], v2 offset:6272                      // 0000000052C0: DBFE1880 18000002
	ds_read_b128 a[28:31], v2 offset:6336                      // 0000000052C8: DBFE18C0 1C000002
	v_mfma_f32_16x16x32_fp8_fp8 v[64:67], a[62:63], a[6:7], v[64:67]// 0000000052D0: D3F30040 1D020D3E
	v_mfma_f32_16x16x32_fp8_fp8 v[68:71], a[56:57], a[8:9], v[68:71]// 0000000052D8: D3F30044 1D121138
	buffer_load_dwordx4 a[52:55], v48, s[84:87], 0 offen offset:1024// 0000000052E0: E05C1400 80953430
	s_add_u32 s60, 0x180, s80                                  // 0000000052E8: 803C50FF 00000180
	s_cmp_lt_u32 s60, s81                                      // 0000000052F0: BF0A513C
	s_cselect_b32 s57, s57, 0                                  // 0000000052F4: 85398039
	v_mfma_f32_16x16x32_fp8_fp8 v[68:71], a[58:59], a[10:11], v[68:71]// 0000000052F8: D3F30044 1D12153A
	s_add_u32 s60, 0x100, s80                                  // 000000005300: 803C50FF 00000100
	s_cmp_lt_u32 s60, s81                                      // 000000005308: BF0A513C
	s_cselect_b32 s58, s58, 0                                  // 00000000530C: 853A803A
	v_mfma_f32_16x16x32_fp8_fp8 v[68:71], a[60:61], a[12:13], v[68:71]// 000000005310: D3F30044 1D12193C
	ds_read_b128 a[32:35], v2 offset:6784                      // 000000005318: DBFE1A80 20000002
	ds_read_b128 a[36:39], v2 offset:6848                      // 000000005320: DBFE1AC0 24000002
	s_add_u32 s60, 0x100, s80                                  // 000000005328: 803C50FF 00000100
	s_cmp_lt_u32 s60, s81                                      // 000000005330: BF0A513C
	s_cselect_b32 s83, s83, 0                                  // 000000005334: 85538053
	v_mfma_f32_16x16x32_fp8_fp8 v[68:71], a[62:63], a[14:15], v[68:71]// 000000005338: D3F30044 1D121D3E
	s_add_u32 s24, s58, s24                                    // 000000005340: 8018183A
	s_addc_u32 s25, 0, s25                                     // 000000005344: 82191980
	v_mfma_f32_16x16x32_fp8_fp8 v[72:75], a[56:57], a[16:17], v[72:75]// 000000005348: D3F30048 1D222138
	s_add_u32 s20, s57, s20                                    // 000000005350: 80141439
	s_addc_u32 s21, 0, s21                                     // 000000005354: 82151580
	v_mfma_f32_16x16x32_fp8_fp8 v[72:75], a[58:59], a[18:19], v[72:75]// 000000005358: D3F30048 1D22253A
	s_add_u32 s84, s83, s84                                    // 000000005360: 80545453
	s_addc_u32 s85, 0, s85                                     // 000000005364: 82555580
	v_mfma_f32_16x16x32_fp8_fp8 v[72:75], a[60:61], a[20:21], v[72:75]// 000000005368: D3F30048 1D22293C
	ds_read_b128 a[40:43], v2 offset:7296                      // 000000005370: DBFE1C80 28000002
	ds_read_b128 a[44:47], v2 offset:7360                      // 000000005378: DBFE1CC0 2C000002
	v_mfma_f32_16x16x32_fp8_fp8 v[72:75], a[62:63], a[22:23], v[72:75]// 000000005380: D3F30048 1D222D3E
	s_addk_i32 s80, 0x80                                       // 000000005388: B7500080
	s_cmp_lt_i32 s80, s81                                      // 00000000538C: BF045150
	s_cbranch_scc0 label_0CA8                                  // 000000005390: BF840240
	s_waitcnt vmcnt(8) lgkmcnt(0)                              // 000000005394: BF8C0078
	v_mfma_f32_16x16x32_fp8_fp8 v[52:55], a[64:65], a[24:25], v[52:55]// 000000005398: D3F30034 1CD23140
	buffer_load_dwordx4 a[56:59], v48, s[24:27], 0 offen       // 0000000053A0: E05C1000 80863830
	v_mfma_f32_16x16x32_fp8_fp8 v[52:55], a[66:67], a[26:27], v[52:55]// 0000000053A8: D3F30034 1CD23542
	v_mfma_f32_16x16x32_fp8_fp8 v[52:55], a[68:69], a[28:29], v[52:55]// 0000000053B0: D3F30034 1CD23944
	v_mfma_f32_16x16x32_fp8_fp8 v[52:55], a[70:71], a[30:31], v[52:55]// 0000000053B8: D3F30034 1CD23D46
	v_mfma_f32_16x16x32_fp8_fp8 v[56:59], a[64:65], a[32:33], v[56:59]// 0000000053C0: D3F30038 1CE24140
	buffer_load_dwordx4 a[60:63], v48, s[24:27], 0 offen offset:1024// 0000000053C8: E05C1400 80863C30
	buffer_load_dword v42, s[20:23], 0 offen lds               // 0000000053D0: E0511000 8005002A
	s_add_u32 m0, 0x100, s48                                   // 0000000053D8: 807C30FF 00000100
	v_mfma_f32_16x16x32_fp8_fp8 v[56:59], a[66:67], a[34:35], v[56:59]// 0000000053E0: D3F30038 1CE24542
	v_mfma_f32_16x16x32_fp8_fp8 v[56:59], a[68:69], a[36:37], v[56:59]// 0000000053E8: D3F30038 1CE24944
	buffer_load_dword v43, s[20:23], 0 offen lds               // 0000000053F0: E0511000 8005002B
	s_add_u32 m0, 0x200, s48                                   // 0000000053F8: 807C30FF 00000200
	v_mfma_f32_16x16x32_fp8_fp8 v[56:59], a[70:71], a[38:39], v[56:59]// 000000005400: D3F30038 1CE24D46
	v_mfma_f32_16x16x32_fp8_fp8 v[60:63], a[64:65], a[40:41], v[60:63]// 000000005408: D3F3003C 1CF25140
	buffer_load_dword v44, s[20:23], 0 offen lds               // 000000005410: E0511000 8005002C
	s_add_u32 m0, 0x300, s48                                   // 000000005418: 807C30FF 00000300
	v_mfma_f32_16x16x32_fp8_fp8 v[60:63], a[66:67], a[42:43], v[60:63]// 000000005420: D3F3003C 1CF25542
	v_mfma_f32_16x16x32_fp8_fp8 v[60:63], a[68:69], a[44:45], v[60:63]// 000000005428: D3F3003C 1CF25944
	buffer_load_dword v45, s[20:23], 0 offen lds               // 000000005430: E0511000 8005002D
	s_add_u32 m0, 0x400, s48                                   // 000000005438: 807C30FF 00000400
	v_mfma_f32_16x16x32_fp8_fp8 v[60:63], a[70:71], a[46:47], v[60:63]// 000000005440: D3F3003C 1CF25D46
	buffer_load_dword v46, s[20:23], 0 offen lds               // 000000005448: E0511000 8005002E
	s_add_u32 m0, 0x500, s48                                   // 000000005450: 807C30FF 00000500
	buffer_load_dword v47, s[20:23], 0 offen lds               // 000000005458: E0511000 8005002F
	s_add_u32 m0, 0, s49                                       // 000000005460: 807C3180
	s_waitcnt vmcnt(8)                                         // 000000005464: BF8C0F78
	s_barrier                                                  // 000000005468: BF8A0000
	v_mfma_f32_16x16x32_fp8_fp8 v[64:67], a[48:49], a[24:25], v[64:67]// 00000000546C: D3F30040 1D023130
	buffer_load_dwordx4 a[64:67], v48, s[84:87], 0 offen       // 000000005474: E05C1000 80954030
	v_mfma_f32_16x16x32_fp8_fp8 v[64:67], a[50:51], a[26:27], v[64:67]// 00000000547C: D3F30040 1D023532
	v_mfma_f32_16x16x32_fp8_fp8 v[64:67], a[52:53], a[28:29], v[64:67]// 000000005484: D3F30040 1D023934
	ds_read_b128 a[0:3], v2 offset:12544                       // 00000000548C: DBFE3100 00000002
	ds_read_b128 a[4:7], v2 offset:12608                       // 000000005494: DBFE3140 04000002
	v_mfma_f32_16x16x32_fp8_fp8 v[64:67], a[54:55], a[30:31], v[64:67]// 00000000549C: D3F30040 1D023D36
	v_mfma_f32_16x16x32_fp8_fp8 v[68:71], a[48:49], a[32:33], v[68:71]// 0000000054A4: D3F30044 1D124130
	buffer_load_dwordx4 a[68:71], v48, s[84:87], 0 offen offset:1024// 0000000054AC: E05C1400 80954430
	s_add_u32 s60, 0x180, s80                                  // 0000000054B4: 803C50FF 00000180
	s_cmp_lt_u32 s60, s81                                      // 0000000054BC: BF0A513C
	s_cselect_b32 s57, s57, 0                                  // 0000000054C0: 85398039
	v_mfma_f32_16x16x32_fp8_fp8 v[68:71], a[50:51], a[34:35], v[68:71]// 0000000054C4: D3F30044 1D124532
	s_add_u32 s60, 0x100, s80                                  // 0000000054CC: 803C50FF 00000100
	s_cmp_lt_u32 s60, s81                                      // 0000000054D4: BF0A513C
	s_cselect_b32 s58, s58, 0                                  // 0000000054D8: 853A803A
	v_mfma_f32_16x16x32_fp8_fp8 v[68:71], a[52:53], a[36:37], v[68:71]// 0000000054DC: D3F30044 1D124934
	ds_read_b128 a[8:11], v2 offset:13056                      // 0000000054E4: DBFE3300 08000002
	ds_read_b128 a[12:15], v2 offset:13120                     // 0000000054EC: DBFE3340 0C000002
	s_add_u32 s60, 0x100, s80                                  // 0000000054F4: 803C50FF 00000100
	s_cmp_lt_u32 s60, s81                                      // 0000000054FC: BF0A513C
	s_cselect_b32 s83, s83, 0                                  // 000000005500: 85538053
	v_mfma_f32_16x16x32_fp8_fp8 v[68:71], a[54:55], a[38:39], v[68:71]// 000000005504: D3F30044 1D124D36
	s_add_u32 s24, s58, s24                                    // 00000000550C: 8018183A
	s_addc_u32 s25, 0, s25                                     // 000000005510: 82191980
	v_mfma_f32_16x16x32_fp8_fp8 v[72:75], a[48:49], a[40:41], v[72:75]// 000000005514: D3F30048 1D225130
	s_add_u32 s20, s57, s20                                    // 00000000551C: 80141439
	s_addc_u32 s21, 0, s21                                     // 000000005520: 82151580
	v_mfma_f32_16x16x32_fp8_fp8 v[72:75], a[50:51], a[42:43], v[72:75]// 000000005524: D3F30048 1D225532
	s_add_u32 s84, s83, s84                                    // 00000000552C: 80545453
	s_addc_u32 s85, 0, s85                                     // 000000005530: 82555580
	v_mfma_f32_16x16x32_fp8_fp8 v[72:75], a[52:53], a[44:45], v[72:75]// 000000005534: D3F30048 1D225934
	ds_read_b128 a[16:19], v2 offset:13568                     // 00000000553C: DBFE3500 10000002
	ds_read_b128 a[20:23], v2 offset:13632                     // 000000005544: DBFE3540 14000002
	v_mfma_f32_16x16x32_fp8_fp8 v[72:75], a[54:55], a[46:47], v[72:75]// 00000000554C: D3F30048 1D225D36
	s_addk_i32 s80, 0x80                                       // 000000005554: B7500080
	s_cmp_lt_i32 s80, s81                                      // 000000005558: BF045150
	s_cbranch_scc0 label_0CA8                                  // 00000000555C: BF8401CD
	s_waitcnt vmcnt(8) lgkmcnt(0)                              // 000000005560: BF8C0078
	v_mfma_f32_16x16x32_fp8_fp8 v[52:55], a[56:57], a[0:1], v[52:55]// 000000005564: D3F30034 1CD20138
	buffer_load_dwordx4 a[48:51], v48, s[24:27], 0 offen       // 00000000556C: E05C1000 80863030
	v_mfma_f32_16x16x32_fp8_fp8 v[52:55], a[58:59], a[2:3], v[52:55]// 000000005574: D3F30034 1CD2053A
	v_mfma_f32_16x16x32_fp8_fp8 v[52:55], a[60:61], a[4:5], v[52:55]// 00000000557C: D3F30034 1CD2093C
	v_mfma_f32_16x16x32_fp8_fp8 v[52:55], a[62:63], a[6:7], v[52:55]// 000000005584: D3F30034 1CD20D3E
	v_mfma_f32_16x16x32_fp8_fp8 v[56:59], a[56:57], a[8:9], v[56:59]// 00000000558C: D3F30038 1CE21138
	buffer_load_dwordx4 a[52:55], v48, s[24:27], 0 offen offset:1024// 000000005594: E05C1400 80863430
	buffer_load_dword v42, s[20:23], 0 offen lds               // 00000000559C: E0511000 8005002A
	s_add_u32 m0, 0x100, s49                                   // 0000000055A4: 807C31FF 00000100
	v_mfma_f32_16x16x32_fp8_fp8 v[56:59], a[58:59], a[10:11], v[56:59]// 0000000055AC: D3F30038 1CE2153A
	v_mfma_f32_16x16x32_fp8_fp8 v[56:59], a[60:61], a[12:13], v[56:59]// 0000000055B4: D3F30038 1CE2193C
	buffer_load_dword v43, s[20:23], 0 offen lds               // 0000000055BC: E0511000 8005002B
	s_add_u32 m0, 0x200, s49                                   // 0000000055C4: 807C31FF 00000200
	v_mfma_f32_16x16x32_fp8_fp8 v[56:59], a[62:63], a[14:15], v[56:59]// 0000000055CC: D3F30038 1CE21D3E
	v_mfma_f32_16x16x32_fp8_fp8 v[60:63], a[56:57], a[16:17], v[60:63]// 0000000055D4: D3F3003C 1CF22138
	buffer_load_dword v44, s[20:23], 0 offen lds               // 0000000055DC: E0511000 8005002C
	s_add_u32 m0, 0x300, s49                                   // 0000000055E4: 807C31FF 00000300
	v_mfma_f32_16x16x32_fp8_fp8 v[60:63], a[58:59], a[18:19], v[60:63]// 0000000055EC: D3F3003C 1CF2253A
	v_mfma_f32_16x16x32_fp8_fp8 v[60:63], a[60:61], a[20:21], v[60:63]// 0000000055F4: D3F3003C 1CF2293C
	buffer_load_dword v45, s[20:23], 0 offen lds               // 0000000055FC: E0511000 8005002D
	s_add_u32 m0, 0x400, s49                                   // 000000005604: 807C31FF 00000400
	v_mfma_f32_16x16x32_fp8_fp8 v[60:63], a[62:63], a[22:23], v[60:63]// 00000000560C: D3F3003C 1CF22D3E
	buffer_load_dword v46, s[20:23], 0 offen lds               // 000000005614: E0511000 8005002E
	s_add_u32 m0, 0x500, s49                                   // 00000000561C: 807C31FF 00000500
	buffer_load_dword v47, s[20:23], 0 offen lds               // 000000005624: E0511000 8005002F
	s_add_u32 m0, 0, s50                                       // 00000000562C: 807C3280
	s_waitcnt vmcnt(8)                                         // 000000005630: BF8C0F78
	s_barrier                                                  // 000000005634: BF8A0000
	v_mfma_f32_16x16x32_fp8_fp8 v[64:67], a[64:65], a[0:1], v[64:67]// 000000005638: D3F30040 1D020140
	buffer_load_dwordx4 a[56:59], v48, s[84:87], 0 offen       // 000000005640: E05C1000 80953830
	v_mfma_f32_16x16x32_fp8_fp8 v[64:67], a[66:67], a[2:3], v[64:67]// 000000005648: D3F30040 1D020542
	v_mfma_f32_16x16x32_fp8_fp8 v[64:67], a[68:69], a[4:5], v[64:67]// 000000005650: D3F30040 1D020944
	ds_read_b128 a[24:27], v2                                  // 000000005658: DBFE0000 18000002
	ds_read_b128 a[28:31], v2 offset:64                        // 000000005660: DBFE0040 1C000002
	v_mfma_f32_16x16x32_fp8_fp8 v[64:67], a[70:71], a[6:7], v[64:67]// 000000005668: D3F30040 1D020D46
	v_mfma_f32_16x16x32_fp8_fp8 v[68:71], a[64:65], a[8:9], v[68:71]// 000000005670: D3F30044 1D121140
	buffer_load_dwordx4 a[60:63], v48, s[84:87], 0 offen offset:1024// 000000005678: E05C1400 80953C30
	s_add_u32 s60, 0x180, s80                                  // 000000005680: 803C50FF 00000180
	s_cmp_lt_u32 s60, s81                                      // 000000005688: BF0A513C
	s_cselect_b32 s57, s57, 0                                  // 00000000568C: 85398039
	v_mfma_f32_16x16x32_fp8_fp8 v[68:71], a[66:67], a[10:11], v[68:71]// 000000005690: D3F30044 1D121542
	s_add_u32 s60, 0x100, s80                                  // 000000005698: 803C50FF 00000100
	s_cmp_lt_u32 s60, s81                                      // 0000000056A0: BF0A513C
	s_cselect_b32 s58, s58, 0                                  // 0000000056A4: 853A803A
	v_mfma_f32_16x16x32_fp8_fp8 v[68:71], a[68:69], a[12:13], v[68:71]// 0000000056A8: D3F30044 1D121944
	ds_read_b128 a[32:35], v2 offset:512                       // 0000000056B0: DBFE0200 20000002
	ds_read_b128 a[36:39], v2 offset:576                       // 0000000056B8: DBFE0240 24000002
	s_add_u32 s60, 0x100, s80                                  // 0000000056C0: 803C50FF 00000100
	s_cmp_lt_u32 s60, s81                                      // 0000000056C8: BF0A513C
	s_cselect_b32 s83, s83, 0                                  // 0000000056CC: 85538053
	v_mfma_f32_16x16x32_fp8_fp8 v[68:71], a[70:71], a[14:15], v[68:71]// 0000000056D0: D3F30044 1D121D46
	s_add_u32 s24, s58, s24                                    // 0000000056D8: 8018183A
	s_addc_u32 s25, 0, s25                                     // 0000000056DC: 82191980
	v_mfma_f32_16x16x32_fp8_fp8 v[72:75], a[64:65], a[16:17], v[72:75]// 0000000056E0: D3F30048 1D222140
	s_add_u32 s20, s57, s20                                    // 0000000056E8: 80141439
	s_addc_u32 s21, 0, s21                                     // 0000000056EC: 82151580
	v_mfma_f32_16x16x32_fp8_fp8 v[72:75], a[66:67], a[18:19], v[72:75]// 0000000056F0: D3F30048 1D222542
	s_add_u32 s84, s83, s84                                    // 0000000056F8: 80545453
	s_addc_u32 s85, 0, s85                                     // 0000000056FC: 82555580
	v_mfma_f32_16x16x32_fp8_fp8 v[72:75], a[68:69], a[20:21], v[72:75]// 000000005700: D3F30048 1D222944
	ds_read_b128 a[40:43], v2 offset:1024                      // 000000005708: DBFE0400 28000002
	ds_read_b128 a[44:47], v2 offset:1088                      // 000000005710: DBFE0440 2C000002
	v_mfma_f32_16x16x32_fp8_fp8 v[72:75], a[70:71], a[22:23], v[72:75]// 000000005718: D3F30048 1D222D46
	s_addk_i32 s80, 0x80                                       // 000000005720: B7500080
	s_cmp_lt_i32 s80, s81                                      // 000000005724: BF045150
	s_cbranch_scc0 label_0CA8                                  // 000000005728: BF84015A
	s_waitcnt vmcnt(8) lgkmcnt(0)                              // 00000000572C: BF8C0078
	v_mfma_f32_16x16x32_fp8_fp8 v[52:55], a[48:49], a[24:25], v[52:55]// 000000005730: D3F30034 1CD23130
	buffer_load_dwordx4 a[64:67], v48, s[24:27], 0 offen       // 000000005738: E05C1000 80864030
	v_mfma_f32_16x16x32_fp8_fp8 v[52:55], a[50:51], a[26:27], v[52:55]// 000000005740: D3F30034 1CD23532
	v_mfma_f32_16x16x32_fp8_fp8 v[52:55], a[52:53], a[28:29], v[52:55]// 000000005748: D3F30034 1CD23934
	v_mfma_f32_16x16x32_fp8_fp8 v[52:55], a[54:55], a[30:31], v[52:55]// 000000005750: D3F30034 1CD23D36
	v_mfma_f32_16x16x32_fp8_fp8 v[56:59], a[48:49], a[32:33], v[56:59]// 000000005758: D3F30038 1CE24130
	buffer_load_dwordx4 a[68:71], v48, s[24:27], 0 offen offset:1024// 000000005760: E05C1400 80864430
	buffer_load_dword v42, s[20:23], 0 offen lds               // 000000005768: E0511000 8005002A
	s_add_u32 m0, 0x100, s50                                   // 000000005770: 807C32FF 00000100
	v_mfma_f32_16x16x32_fp8_fp8 v[56:59], a[50:51], a[34:35], v[56:59]// 000000005778: D3F30038 1CE24532
	v_mfma_f32_16x16x32_fp8_fp8 v[56:59], a[52:53], a[36:37], v[56:59]// 000000005780: D3F30038 1CE24934
	buffer_load_dword v43, s[20:23], 0 offen lds               // 000000005788: E0511000 8005002B
	s_add_u32 m0, 0x200, s50                                   // 000000005790: 807C32FF 00000200
	v_mfma_f32_16x16x32_fp8_fp8 v[56:59], a[54:55], a[38:39], v[56:59]// 000000005798: D3F30038 1CE24D36
	v_mfma_f32_16x16x32_fp8_fp8 v[60:63], a[48:49], a[40:41], v[60:63]// 0000000057A0: D3F3003C 1CF25130
	buffer_load_dword v44, s[20:23], 0 offen lds               // 0000000057A8: E0511000 8005002C
	s_add_u32 m0, 0x300, s50                                   // 0000000057B0: 807C32FF 00000300
	v_mfma_f32_16x16x32_fp8_fp8 v[60:63], a[50:51], a[42:43], v[60:63]// 0000000057B8: D3F3003C 1CF25532
	v_mfma_f32_16x16x32_fp8_fp8 v[60:63], a[52:53], a[44:45], v[60:63]// 0000000057C0: D3F3003C 1CF25934
	buffer_load_dword v45, s[20:23], 0 offen lds               // 0000000057C8: E0511000 8005002D
	s_add_u32 m0, 0x400, s50                                   // 0000000057D0: 807C32FF 00000400
	v_mfma_f32_16x16x32_fp8_fp8 v[60:63], a[54:55], a[46:47], v[60:63]// 0000000057D8: D3F3003C 1CF25D36
	buffer_load_dword v46, s[20:23], 0 offen lds               // 0000000057E0: E0511000 8005002E
	s_add_u32 m0, 0x500, s50                                   // 0000000057E8: 807C32FF 00000500
	buffer_load_dword v47, s[20:23], 0 offen lds               // 0000000057F0: E0511000 8005002F
	s_add_u32 m0, 0, s48                                       // 0000000057F8: 807C3080
	s_waitcnt vmcnt(8)                                         // 0000000057FC: BF8C0F78
	s_barrier                                                  // 000000005800: BF8A0000
	v_mfma_f32_16x16x32_fp8_fp8 v[64:67], a[56:57], a[24:25], v[64:67]// 000000005804: D3F30040 1D023138
	buffer_load_dwordx4 a[48:51], v48, s[84:87], 0 offen       // 00000000580C: E05C1000 80953030
	v_mfma_f32_16x16x32_fp8_fp8 v[64:67], a[58:59], a[26:27], v[64:67]// 000000005814: D3F30040 1D02353A
	v_mfma_f32_16x16x32_fp8_fp8 v[64:67], a[60:61], a[28:29], v[64:67]// 00000000581C: D3F30040 1D02393C
	ds_read_b128 a[0:3], v2 offset:6272                        // 000000005824: DBFE1880 00000002
	ds_read_b128 a[4:7], v2 offset:6336                        // 00000000582C: DBFE18C0 04000002
	v_mfma_f32_16x16x32_fp8_fp8 v[64:67], a[62:63], a[30:31], v[64:67]// 000000005834: D3F30040 1D023D3E
	v_mfma_f32_16x16x32_fp8_fp8 v[68:71], a[56:57], a[32:33], v[68:71]// 00000000583C: D3F30044 1D124138
	buffer_load_dwordx4 a[52:55], v48, s[84:87], 0 offen offset:1024// 000000005844: E05C1400 80953430
	s_add_u32 s60, 0x180, s80                                  // 00000000584C: 803C50FF 00000180
	s_cmp_lt_u32 s60, s81                                      // 000000005854: BF0A513C
	s_cselect_b32 s57, s57, 0                                  // 000000005858: 85398039
	v_mfma_f32_16x16x32_fp8_fp8 v[68:71], a[58:59], a[34:35], v[68:71]// 00000000585C: D3F30044 1D12453A
	s_add_u32 s60, 0x100, s80                                  // 000000005864: 803C50FF 00000100
	s_cmp_lt_u32 s60, s81                                      // 00000000586C: BF0A513C
	s_cselect_b32 s58, s58, 0                                  // 000000005870: 853A803A
	v_mfma_f32_16x16x32_fp8_fp8 v[68:71], a[60:61], a[36:37], v[68:71]// 000000005874: D3F30044 1D12493C
	ds_read_b128 a[8:11], v2 offset:6784                       // 00000000587C: DBFE1A80 08000002
	ds_read_b128 a[12:15], v2 offset:6848                      // 000000005884: DBFE1AC0 0C000002
	s_add_u32 s60, 0x100, s80                                  // 00000000588C: 803C50FF 00000100
	s_cmp_lt_u32 s60, s81                                      // 000000005894: BF0A513C
	s_cselect_b32 s83, s83, 0                                  // 000000005898: 85538053
	v_mfma_f32_16x16x32_fp8_fp8 v[68:71], a[62:63], a[38:39], v[68:71]// 00000000589C: D3F30044 1D124D3E
	s_add_u32 s24, s58, s24                                    // 0000000058A4: 8018183A
	s_addc_u32 s25, 0, s25                                     // 0000000058A8: 82191980
	v_mfma_f32_16x16x32_fp8_fp8 v[72:75], a[56:57], a[40:41], v[72:75]// 0000000058AC: D3F30048 1D225138
	s_add_u32 s20, s57, s20                                    // 0000000058B4: 80141439
	s_addc_u32 s21, 0, s21                                     // 0000000058B8: 82151580
	v_mfma_f32_16x16x32_fp8_fp8 v[72:75], a[58:59], a[42:43], v[72:75]// 0000000058BC: D3F30048 1D22553A
	s_add_u32 s84, s83, s84                                    // 0000000058C4: 80545453
	s_addc_u32 s85, 0, s85                                     // 0000000058C8: 82555580
	v_mfma_f32_16x16x32_fp8_fp8 v[72:75], a[60:61], a[44:45], v[72:75]// 0000000058CC: D3F30048 1D22593C
	ds_read_b128 a[16:19], v2 offset:7296                      // 0000000058D4: DBFE1C80 10000002
	ds_read_b128 a[20:23], v2 offset:7360                      // 0000000058DC: DBFE1CC0 14000002
	v_mfma_f32_16x16x32_fp8_fp8 v[72:75], a[62:63], a[46:47], v[72:75]// 0000000058E4: D3F30048 1D225D3E
	s_addk_i32 s80, 0x80                                       // 0000000058EC: B7500080
	s_cmp_lt_i32 s80, s81                                      // 0000000058F0: BF045150
	s_cbranch_scc0 label_0CA8                                  // 0000000058F4: BF8400E7
	s_waitcnt vmcnt(8) lgkmcnt(0)                              // 0000000058F8: BF8C0078
	v_mfma_f32_16x16x32_fp8_fp8 v[52:55], a[64:65], a[0:1], v[52:55]// 0000000058FC: D3F30034 1CD20140
	buffer_load_dwordx4 a[56:59], v48, s[24:27], 0 offen       // 000000005904: E05C1000 80863830
	v_mfma_f32_16x16x32_fp8_fp8 v[52:55], a[66:67], a[2:3], v[52:55]// 00000000590C: D3F30034 1CD20542
	v_mfma_f32_16x16x32_fp8_fp8 v[52:55], a[68:69], a[4:5], v[52:55]// 000000005914: D3F30034 1CD20944
	v_mfma_f32_16x16x32_fp8_fp8 v[52:55], a[70:71], a[6:7], v[52:55]// 00000000591C: D3F30034 1CD20D46
	v_mfma_f32_16x16x32_fp8_fp8 v[56:59], a[64:65], a[8:9], v[56:59]// 000000005924: D3F30038 1CE21140
	buffer_load_dwordx4 a[60:63], v48, s[24:27], 0 offen offset:1024// 00000000592C: E05C1400 80863C30
	buffer_load_dword v42, s[20:23], 0 offen lds               // 000000005934: E0511000 8005002A
	s_add_u32 m0, 0x100, s48                                   // 00000000593C: 807C30FF 00000100
	v_mfma_f32_16x16x32_fp8_fp8 v[56:59], a[66:67], a[10:11], v[56:59]// 000000005944: D3F30038 1CE21542
	v_mfma_f32_16x16x32_fp8_fp8 v[56:59], a[68:69], a[12:13], v[56:59]// 00000000594C: D3F30038 1CE21944
	buffer_load_dword v43, s[20:23], 0 offen lds               // 000000005954: E0511000 8005002B
	s_add_u32 m0, 0x200, s48                                   // 00000000595C: 807C30FF 00000200
	v_mfma_f32_16x16x32_fp8_fp8 v[56:59], a[70:71], a[14:15], v[56:59]// 000000005964: D3F30038 1CE21D46
	v_mfma_f32_16x16x32_fp8_fp8 v[60:63], a[64:65], a[16:17], v[60:63]// 00000000596C: D3F3003C 1CF22140
	buffer_load_dword v44, s[20:23], 0 offen lds               // 000000005974: E0511000 8005002C
	s_add_u32 m0, 0x300, s48                                   // 00000000597C: 807C30FF 00000300
	v_mfma_f32_16x16x32_fp8_fp8 v[60:63], a[66:67], a[18:19], v[60:63]// 000000005984: D3F3003C 1CF22542
	v_mfma_f32_16x16x32_fp8_fp8 v[60:63], a[68:69], a[20:21], v[60:63]// 00000000598C: D3F3003C 1CF22944
	buffer_load_dword v45, s[20:23], 0 offen lds               // 000000005994: E0511000 8005002D
	s_add_u32 m0, 0x400, s48                                   // 00000000599C: 807C30FF 00000400
	v_mfma_f32_16x16x32_fp8_fp8 v[60:63], a[70:71], a[22:23], v[60:63]// 0000000059A4: D3F3003C 1CF22D46
	buffer_load_dword v46, s[20:23], 0 offen lds               // 0000000059AC: E0511000 8005002E
	s_add_u32 m0, 0x500, s48                                   // 0000000059B4: 807C30FF 00000500
	buffer_load_dword v47, s[20:23], 0 offen lds               // 0000000059BC: E0511000 8005002F
	s_add_u32 m0, 0, s49                                       // 0000000059C4: 807C3180
	s_waitcnt vmcnt(8)                                         // 0000000059C8: BF8C0F78
	s_barrier                                                  // 0000000059CC: BF8A0000
	v_mfma_f32_16x16x32_fp8_fp8 v[64:67], a[48:49], a[0:1], v[64:67]// 0000000059D0: D3F30040 1D020130
	buffer_load_dwordx4 a[64:67], v48, s[84:87], 0 offen       // 0000000059D8: E05C1000 80954030
	v_mfma_f32_16x16x32_fp8_fp8 v[64:67], a[50:51], a[2:3], v[64:67]// 0000000059E0: D3F30040 1D020532
	v_mfma_f32_16x16x32_fp8_fp8 v[64:67], a[52:53], a[4:5], v[64:67]// 0000000059E8: D3F30040 1D020934
	ds_read_b128 a[24:27], v2 offset:12544                     // 0000000059F0: DBFE3100 18000002
	ds_read_b128 a[28:31], v2 offset:12608                     // 0000000059F8: DBFE3140 1C000002
	v_mfma_f32_16x16x32_fp8_fp8 v[64:67], a[54:55], a[6:7], v[64:67]// 000000005A00: D3F30040 1D020D36
	v_mfma_f32_16x16x32_fp8_fp8 v[68:71], a[48:49], a[8:9], v[68:71]// 000000005A08: D3F30044 1D121130
	buffer_load_dwordx4 a[68:71], v48, s[84:87], 0 offen offset:1024// 000000005A10: E05C1400 80954430
	s_add_u32 s60, 0x180, s80                                  // 000000005A18: 803C50FF 00000180
	s_cmp_lt_u32 s60, s81                                      // 000000005A20: BF0A513C
	s_cselect_b32 s57, s57, 0                                  // 000000005A24: 85398039
	v_mfma_f32_16x16x32_fp8_fp8 v[68:71], a[50:51], a[10:11], v[68:71]// 000000005A28: D3F30044 1D121532
	s_add_u32 s60, 0x100, s80                                  // 000000005A30: 803C50FF 00000100
	s_cmp_lt_u32 s60, s81                                      // 000000005A38: BF0A513C
	s_cselect_b32 s58, s58, 0                                  // 000000005A3C: 853A803A
	v_mfma_f32_16x16x32_fp8_fp8 v[68:71], a[52:53], a[12:13], v[68:71]// 000000005A40: D3F30044 1D121934
	ds_read_b128 a[32:35], v2 offset:13056                     // 000000005A48: DBFE3300 20000002
	ds_read_b128 a[36:39], v2 offset:13120                     // 000000005A50: DBFE3340 24000002
	s_add_u32 s60, 0x100, s80                                  // 000000005A58: 803C50FF 00000100
	s_cmp_lt_u32 s60, s81                                      // 000000005A60: BF0A513C
	s_cselect_b32 s83, s83, 0                                  // 000000005A64: 85538053
	v_mfma_f32_16x16x32_fp8_fp8 v[68:71], a[54:55], a[14:15], v[68:71]// 000000005A68: D3F30044 1D121D36
	s_add_u32 s24, s58, s24                                    // 000000005A70: 8018183A
	s_addc_u32 s25, 0, s25                                     // 000000005A74: 82191980
	v_mfma_f32_16x16x32_fp8_fp8 v[72:75], a[48:49], a[16:17], v[72:75]// 000000005A78: D3F30048 1D222130
	s_add_u32 s20, s57, s20                                    // 000000005A80: 80141439
	s_addc_u32 s21, 0, s21                                     // 000000005A84: 82151580
	v_mfma_f32_16x16x32_fp8_fp8 v[72:75], a[50:51], a[18:19], v[72:75]// 000000005A88: D3F30048 1D222532
	s_add_u32 s84, s83, s84                                    // 000000005A90: 80545453
	s_addc_u32 s85, 0, s85                                     // 000000005A94: 82555580
	v_mfma_f32_16x16x32_fp8_fp8 v[72:75], a[52:53], a[20:21], v[72:75]// 000000005A98: D3F30048 1D222934
	ds_read_b128 a[40:43], v2 offset:13568                     // 000000005AA0: DBFE3500 28000002
	ds_read_b128 a[44:47], v2 offset:13632                     // 000000005AA8: DBFE3540 2C000002
	v_mfma_f32_16x16x32_fp8_fp8 v[72:75], a[54:55], a[22:23], v[72:75]// 000000005AB0: D3F30048 1D222D36
	s_addk_i32 s80, 0x80                                       // 000000005AB8: B7500080
	s_cmp_lt_i32 s80, s81                                      // 000000005ABC: BF045150
	s_cbranch_scc0 label_0CA8                                  // 000000005AC0: BF840074
	s_waitcnt vmcnt(8) lgkmcnt(0)                              // 000000005AC4: BF8C0078
	v_mfma_f32_16x16x32_fp8_fp8 v[52:55], a[56:57], a[24:25], v[52:55]// 000000005AC8: D3F30034 1CD23138
	buffer_load_dwordx4 a[48:51], v48, s[24:27], 0 offen       // 000000005AD0: E05C1000 80863030
	v_mfma_f32_16x16x32_fp8_fp8 v[52:55], a[58:59], a[26:27], v[52:55]// 000000005AD8: D3F30034 1CD2353A
	v_mfma_f32_16x16x32_fp8_fp8 v[52:55], a[60:61], a[28:29], v[52:55]// 000000005AE0: D3F30034 1CD2393C
	v_mfma_f32_16x16x32_fp8_fp8 v[52:55], a[62:63], a[30:31], v[52:55]// 000000005AE8: D3F30034 1CD23D3E
	v_mfma_f32_16x16x32_fp8_fp8 v[56:59], a[56:57], a[32:33], v[56:59]// 000000005AF0: D3F30038 1CE24138
	buffer_load_dwordx4 a[52:55], v48, s[24:27], 0 offen offset:1024// 000000005AF8: E05C1400 80863430
	buffer_load_dword v42, s[20:23], 0 offen lds               // 000000005B00: E0511000 8005002A
	s_add_u32 m0, 0x100, s49                                   // 000000005B08: 807C31FF 00000100
	v_mfma_f32_16x16x32_fp8_fp8 v[56:59], a[58:59], a[34:35], v[56:59]// 000000005B10: D3F30038 1CE2453A
	v_mfma_f32_16x16x32_fp8_fp8 v[56:59], a[60:61], a[36:37], v[56:59]// 000000005B18: D3F30038 1CE2493C
	buffer_load_dword v43, s[20:23], 0 offen lds               // 000000005B20: E0511000 8005002B
	s_add_u32 m0, 0x200, s49                                   // 000000005B28: 807C31FF 00000200
	v_mfma_f32_16x16x32_fp8_fp8 v[56:59], a[62:63], a[38:39], v[56:59]// 000000005B30: D3F30038 1CE24D3E
	v_mfma_f32_16x16x32_fp8_fp8 v[60:63], a[56:57], a[40:41], v[60:63]// 000000005B38: D3F3003C 1CF25138
	buffer_load_dword v44, s[20:23], 0 offen lds               // 000000005B40: E0511000 8005002C
	s_add_u32 m0, 0x300, s49                                   // 000000005B48: 807C31FF 00000300
	v_mfma_f32_16x16x32_fp8_fp8 v[60:63], a[58:59], a[42:43], v[60:63]// 000000005B50: D3F3003C 1CF2553A
	v_mfma_f32_16x16x32_fp8_fp8 v[60:63], a[60:61], a[44:45], v[60:63]// 000000005B58: D3F3003C 1CF2593C
	buffer_load_dword v45, s[20:23], 0 offen lds               // 000000005B60: E0511000 8005002D
	s_add_u32 m0, 0x400, s49                                   // 000000005B68: 807C31FF 00000400
	v_mfma_f32_16x16x32_fp8_fp8 v[60:63], a[62:63], a[46:47], v[60:63]// 000000005B70: D3F3003C 1CF25D3E
	buffer_load_dword v46, s[20:23], 0 offen lds               // 000000005B78: E0511000 8005002E
	s_add_u32 m0, 0x500, s49                                   // 000000005B80: 807C31FF 00000500
	buffer_load_dword v47, s[20:23], 0 offen lds               // 000000005B88: E0511000 8005002F
	s_add_u32 m0, 0, s50                                       // 000000005B90: 807C3280
	s_waitcnt vmcnt(8)                                         // 000000005B94: BF8C0F78
	s_barrier                                                  // 000000005B98: BF8A0000
	v_mfma_f32_16x16x32_fp8_fp8 v[64:67], a[64:65], a[24:25], v[64:67]// 000000005B9C: D3F30040 1D023140
	buffer_load_dwordx4 a[56:59], v48, s[84:87], 0 offen       // 000000005BA4: E05C1000 80953830
	v_mfma_f32_16x16x32_fp8_fp8 v[64:67], a[66:67], a[26:27], v[64:67]// 000000005BAC: D3F30040 1D023542
	v_mfma_f32_16x16x32_fp8_fp8 v[64:67], a[68:69], a[28:29], v[64:67]// 000000005BB4: D3F30040 1D023944
	ds_read_b128 a[0:3], v2                                    // 000000005BBC: DBFE0000 00000002
	ds_read_b128 a[4:7], v2 offset:64                          // 000000005BC4: DBFE0040 04000002
	v_mfma_f32_16x16x32_fp8_fp8 v[64:67], a[70:71], a[30:31], v[64:67]// 000000005BCC: D3F30040 1D023D46
	v_mfma_f32_16x16x32_fp8_fp8 v[68:71], a[64:65], a[32:33], v[68:71]// 000000005BD4: D3F30044 1D124140
	buffer_load_dwordx4 a[60:63], v48, s[84:87], 0 offen offset:1024// 000000005BDC: E05C1400 80953C30
	s_add_u32 s60, 0x180, s80                                  // 000000005BE4: 803C50FF 00000180
	s_cmp_lt_u32 s60, s81                                      // 000000005BEC: BF0A513C
	s_cselect_b32 s57, s57, 0                                  // 000000005BF0: 85398039
	v_mfma_f32_16x16x32_fp8_fp8 v[68:71], a[66:67], a[34:35], v[68:71]// 000000005BF4: D3F30044 1D124542
	s_add_u32 s60, 0x100, s80                                  // 000000005BFC: 803C50FF 00000100
	s_cmp_lt_u32 s60, s81                                      // 000000005C04: BF0A513C
	s_cselect_b32 s58, s58, 0                                  // 000000005C08: 853A803A
	v_mfma_f32_16x16x32_fp8_fp8 v[68:71], a[68:69], a[36:37], v[68:71]// 000000005C0C: D3F30044 1D124944
	ds_read_b128 a[8:11], v2 offset:512                        // 000000005C14: DBFE0200 08000002
	ds_read_b128 a[12:15], v2 offset:576                       // 000000005C1C: DBFE0240 0C000002
	s_add_u32 s60, 0x100, s80                                  // 000000005C24: 803C50FF 00000100
	s_cmp_lt_u32 s60, s81                                      // 000000005C2C: BF0A513C
	s_cselect_b32 s83, s83, 0                                  // 000000005C30: 85538053
	v_mfma_f32_16x16x32_fp8_fp8 v[68:71], a[70:71], a[38:39], v[68:71]// 000000005C34: D3F30044 1D124D46
	s_add_u32 s24, s58, s24                                    // 000000005C3C: 8018183A
	s_addc_u32 s25, 0, s25                                     // 000000005C40: 82191980
	v_mfma_f32_16x16x32_fp8_fp8 v[72:75], a[64:65], a[40:41], v[72:75]// 000000005C44: D3F30048 1D225140
	s_add_u32 s20, s57, s20                                    // 000000005C4C: 80141439
	s_addc_u32 s21, 0, s21                                     // 000000005C50: 82151580
	v_mfma_f32_16x16x32_fp8_fp8 v[72:75], a[66:67], a[42:43], v[72:75]// 000000005C54: D3F30048 1D225542
	s_add_u32 s84, s83, s84                                    // 000000005C5C: 80545453
	s_addc_u32 s85, 0, s85                                     // 000000005C60: 82555580
	v_mfma_f32_16x16x32_fp8_fp8 v[72:75], a[68:69], a[44:45], v[72:75]// 000000005C64: D3F30048 1D225944
	ds_read_b128 a[16:19], v2 offset:1024                      // 000000005C6C: DBFE0400 10000002
	ds_read_b128 a[20:23], v2 offset:1088                      // 000000005C74: DBFE0440 14000002
	v_mfma_f32_16x16x32_fp8_fp8 v[72:75], a[70:71], a[46:47], v[72:75]// 000000005C7C: D3F30048 1D225D46
	s_addk_i32 s80, 0x80                                       // 000000005C84: B7500080
	s_cmp_lt_i32 s80, s81                                      // 000000005C88: BF045150
	s_cbranch_scc0 label_0CA8                                  // 000000005C8C: BF840001
	s_branch label_09F5                                        // 000000005C90: BF82FD4D

0000000000005c94 <label_0CA8>:
	v_mul_f32_dpp v52, v24, v52 row_newbcast:0 row_mask:0xf bank_mask:0xf// 000000005C94: 0A6868FA FF015018
	v_mul_f32_dpp v53, v24, v53 row_newbcast:1 row_mask:0xf bank_mask:0xf// 000000005C9C: 0A6A6AFA FF015118
	v_mul_f32_dpp v54, v24, v54 row_newbcast:2 row_mask:0xf bank_mask:0xf// 000000005CA4: 0A6C6CFA FF015218
	v_mul_f32_dpp v55, v24, v55 row_newbcast:3 row_mask:0xf bank_mask:0xf// 000000005CAC: 0A6E6EFA FF015318
	v_mul_f32_dpp v56, v24, v56 row_newbcast:0 row_mask:0xf bank_mask:0xf// 000000005CB4: 0A7070FA FF015018
	v_mul_f32_dpp v57, v24, v57 row_newbcast:1 row_mask:0xf bank_mask:0xf// 000000005CBC: 0A7272FA FF015118
	v_mul_f32_dpp v58, v24, v58 row_newbcast:2 row_mask:0xf bank_mask:0xf// 000000005CC4: 0A7474FA FF015218
	v_mul_f32_dpp v59, v24, v59 row_newbcast:3 row_mask:0xf bank_mask:0xf// 000000005CCC: 0A7676FA FF015318
	v_mul_f32_dpp v60, v24, v60 row_newbcast:0 row_mask:0xf bank_mask:0xf// 000000005CD4: 0A7878FA FF015018
	v_mul_f32_dpp v61, v24, v61 row_newbcast:1 row_mask:0xf bank_mask:0xf// 000000005CDC: 0A7A7AFA FF015118
	v_mul_f32_dpp v62, v24, v62 row_newbcast:2 row_mask:0xf bank_mask:0xf// 000000005CE4: 0A7C7CFA FF015218
	v_mul_f32_dpp v63, v24, v63 row_newbcast:3 row_mask:0xf bank_mask:0xf// 000000005CEC: 0A7E7EFA FF015318
	v_mul_f32_dpp v64, v27, v64 row_newbcast:0 row_mask:0xf bank_mask:0xf// 000000005CF4: 0A8080FA FF01501B
	v_mul_f32_dpp v65, v27, v65 row_newbcast:1 row_mask:0xf bank_mask:0xf// 000000005CFC: 0A8282FA FF01511B
	v_mul_f32_dpp v66, v27, v66 row_newbcast:2 row_mask:0xf bank_mask:0xf// 000000005D04: 0A8484FA FF01521B
	v_mul_f32_dpp v67, v27, v67 row_newbcast:3 row_mask:0xf bank_mask:0xf// 000000005D0C: 0A8686FA FF01531B
	v_mul_f32_dpp v68, v27, v68 row_newbcast:0 row_mask:0xf bank_mask:0xf// 000000005D14: 0A8888FA FF01501B
	v_mul_f32_dpp v69, v27, v69 row_newbcast:1 row_mask:0xf bank_mask:0xf// 000000005D1C: 0A8A8AFA FF01511B
	v_mul_f32_dpp v70, v27, v70 row_newbcast:2 row_mask:0xf bank_mask:0xf// 000000005D24: 0A8C8CFA FF01521B
	v_mul_f32_dpp v71, v27, v71 row_newbcast:3 row_mask:0xf bank_mask:0xf// 000000005D2C: 0A8E8EFA FF01531B
	v_mul_f32_dpp v72, v27, v72 row_newbcast:0 row_mask:0xf bank_mask:0xf// 000000005D34: 0A9090FA FF01501B
	v_mul_f32_dpp v73, v27, v73 row_newbcast:1 row_mask:0xf bank_mask:0xf// 000000005D3C: 0A9292FA FF01511B
	v_mul_f32_dpp v74, v27, v74 row_newbcast:2 row_mask:0xf bank_mask:0xf// 000000005D44: 0A9494FA FF01521B
	v_mul_f32_dpp v75, v27, v75 row_newbcast:3 row_mask:0xf bank_mask:0xf// 000000005D4C: 0A9696FA FF01531B
	v_mov_b32_e32 v4, v33                                      // 000000005D54: 7E080321
	v_mov_b32_e32 v5, v4                                       // 000000005D58: 7E0A0304
	v_pk_mul_f32 v[52:53], v[4:5], v[52:53]                    // 000000005D5C: D3B14034 18026904
	v_pk_mul_f32 v[64:65], v[4:5], v[64:65]                    // 000000005D64: D3B14040 18028104
	v_pk_mul_f32 v[54:55], v[4:5], v[54:55]                    // 000000005D6C: D3B14036 18026D04
	v_pk_mul_f32 v[66:67], v[4:5], v[66:67]                    // 000000005D74: D3B14042 18028504
	v_mov_b32_e32 v4, v34                                      // 000000005D7C: 7E080322
	v_mov_b32_e32 v5, v4                                       // 000000005D80: 7E0A0304
	v_pk_mul_f32 v[56:57], v[4:5], v[56:57]                    // 000000005D84: D3B14038 18027104
	v_pk_mul_f32 v[68:69], v[4:5], v[68:69]                    // 000000005D8C: D3B14044 18028904
	v_pk_mul_f32 v[58:59], v[4:5], v[58:59]                    // 000000005D94: D3B1403A 18027504
	v_pk_mul_f32 v[70:71], v[4:5], v[70:71]                    // 000000005D9C: D3B14046 18028D04
	v_mov_b32_e32 v4, v35                                      // 000000005DA4: 7E080323
	v_mov_b32_e32 v5, v4                                       // 000000005DA8: 7E0A0304
	v_pk_mul_f32 v[60:61], v[4:5], v[60:61]                    // 000000005DAC: D3B1403C 18027904
	v_pk_mul_f32 v[72:73], v[4:5], v[72:73]                    // 000000005DB4: D3B14048 18029104
	v_pk_mul_f32 v[62:63], v[4:5], v[62:63]                    // 000000005DBC: D3B1403E 18027D04
	v_pk_mul_f32 v[74:75], v[4:5], v[74:75]                    // 000000005DC4: D3B1404A 18029504
	s_cmp_eq_u32 s88, 0                                        // 000000005DCC: BF068058
	s_cbranch_scc0 label_0F47                                  // 000000005DD0: BF84024F
	s_cmp_eq_u32 s89, 0                                        // 000000005DD4: BF068059
	s_cbranch_scc1 label_0D77                                  // 000000005DD8: BF85007D
	v_mov_b32_e32 v8, v1                                       // 000000005DDC: 7E100301
	v_mov_b32_e32 v9, v1                                       // 000000005DE0: 7E120301
	s_mov_b32 s60, s6                                          // 000000005DE4: BEBC0006
	s_mov_b32 s61, s6                                          // 000000005DE8: BEBD0006
	v_pk_mul_f32 v[4:5], v[52:53], v[52:53]                    // 000000005DEC: D3B14004 18026934
	v_pk_mul_f32 v[6:7], v[54:55], v[54:55]                    // 000000005DF4: D3B14006 18026D36
	v_pk_fma_f32 v[4:5], v[4:5], s[78:79], v[8:9]              // 000000005DFC: D3B04004 1C209D04
	v_pk_fma_f32 v[6:7], v[6:7], s[78:79], v[8:9]              // 000000005E04: D3B04006 1C209D06
	v_pk_mul_f32 v[4:5], v[4:5], v[52:53]                      // 000000005E0C: D3B14004 18026904
	v_pk_mul_f32 v[6:7], v[6:7], v[54:55]                      // 000000005E14: D3B14006 18026D06
	v_pk_mul_f32 v[4:5], v[4:5], s[60:61]                      // 000000005E1C: D3B14004 18007904
	v_pk_mul_f32 v[6:7], v[6:7], s[60:61]                      // 000000005E24: D3B14006 18007906
	v_exp_f32_e32 v4, v4                                       // 000000005E2C: 7E084104
	v_exp_f32_e32 v5, v5                                       // 000000005E30: 7E0A4105
	v_exp_f32_e32 v6, v6                                       // 000000005E34: 7E0C4106
	v_exp_f32_e32 v7, v7                                       // 000000005E38: 7E0E4107
	v_add_f32_e64 v4, v4, 1.0                                  // 000000005E3C: D1010004 0001E504
	v_add_f32_e64 v5, v5, 1.0                                  // 000000005E44: D1010005 0001E505
	v_add_f32_e64 v6, v6, 1.0                                  // 000000005E4C: D1010006 0001E506
	v_add_f32_e64 v7, v7, 1.0                                  // 000000005E54: D1010007 0001E507
	v_rcp_f32_e32 v4, v4                                       // 000000005E5C: 7E084504
	v_rcp_f32_e32 v5, v5                                       // 000000005E60: 7E0A4505
	v_rcp_f32_e32 v6, v6                                       // 000000005E64: 7E0C4506
	v_rcp_f32_e32 v7, v7                                       // 000000005E68: 7E0E4507
	v_mul_f32_e32 v52, v52, v4                                 // 000000005E6C: 0A680934
	v_mul_f32_e32 v53, v53, v5                                 // 000000005E70: 0A6A0B35
	v_mul_f32_e32 v54, v54, v6                                 // 000000005E74: 0A6C0D36
	v_mul_f32_e32 v55, v55, v7                                 // 000000005E78: 0A6E0F37
	v_mul_f32_e32 v52, v52, v64                                // 000000005E7C: 0A688134
	v_mul_f32_e32 v53, v53, v65                                // 000000005E80: 0A6A8335
	v_mul_f32_e32 v54, v54, v66                                // 000000005E84: 0A6C8536
	v_mul_f32_e32 v55, v55, v67                                // 000000005E88: 0A6E8737
	v_pk_mul_f32 v[4:5], v[56:57], v[56:57]                    // 000000005E8C: D3B14004 18027138
	v_pk_mul_f32 v[6:7], v[58:59], v[58:59]                    // 000000005E94: D3B14006 1802753A
	v_pk_fma_f32 v[4:5], v[4:5], s[78:79], v[8:9]              // 000000005E9C: D3B04004 1C209D04
	v_pk_fma_f32 v[6:7], v[6:7], s[78:79], v[8:9]              // 000000005EA4: D3B04006 1C209D06
	v_pk_mul_f32 v[4:5], v[4:5], v[56:57]                      // 000000005EAC: D3B14004 18027104
	v_pk_mul_f32 v[6:7], v[6:7], v[58:59]                      // 000000005EB4: D3B14006 18027506
	v_pk_mul_f32 v[4:5], v[4:5], s[60:61]                      // 000000005EBC: D3B14004 18007904
	v_pk_mul_f32 v[6:7], v[6:7], s[60:61]                      // 000000005EC4: D3B14006 18007906
	v_exp_f32_e32 v4, v4                                       // 000000005ECC: 7E084104
	v_exp_f32_e32 v5, v5                                       // 000000005ED0: 7E0A4105
	v_exp_f32_e32 v6, v6                                       // 000000005ED4: 7E0C4106
	v_exp_f32_e32 v7, v7                                       // 000000005ED8: 7E0E4107
	v_add_f32_e64 v4, v4, 1.0                                  // 000000005EDC: D1010004 0001E504
	v_add_f32_e64 v5, v5, 1.0                                  // 000000005EE4: D1010005 0001E505
	v_add_f32_e64 v6, v6, 1.0                                  // 000000005EEC: D1010006 0001E506
	v_add_f32_e64 v7, v7, 1.0                                  // 000000005EF4: D1010007 0001E507
	v_rcp_f32_e32 v4, v4                                       // 000000005EFC: 7E084504
	v_rcp_f32_e32 v5, v5                                       // 000000005F00: 7E0A4505
	v_rcp_f32_e32 v6, v6                                       // 000000005F04: 7E0C4506
	v_rcp_f32_e32 v7, v7                                       // 000000005F08: 7E0E4507
	v_mul_f32_e32 v56, v56, v4                                 // 000000005F0C: 0A700938
	v_mul_f32_e32 v57, v57, v5                                 // 000000005F10: 0A720B39
	v_mul_f32_e32 v58, v58, v6                                 // 000000005F14: 0A740D3A
	v_mul_f32_e32 v59, v59, v7                                 // 000000005F18: 0A760F3B
	v_mul_f32_e32 v56, v56, v68                                // 000000005F1C: 0A708938
	v_mul_f32_e32 v57, v57, v69                                // 000000005F20: 0A728B39
	v_mul_f32_e32 v58, v58, v70                                // 000000005F24: 0A748D3A
	v_mul_f32_e32 v59, v59, v71                                // 000000005F28: 0A768F3B
	v_pk_mul_f32 v[4:5], v[60:61], v[60:61]                    // 000000005F2C: D3B14004 1802793C
	v_pk_mul_f32 v[6:7], v[62:63], v[62:63]                    // 000000005F34: D3B14006 18027D3E
	v_pk_fma_f32 v[4:5], v[4:5], s[78:79], v[8:9]              // 000000005F3C: D3B04004 1C209D04
	v_pk_fma_f32 v[6:7], v[6:7], s[78:79], v[8:9]              // 000000005F44: D3B04006 1C209D06
	v_pk_mul_f32 v[4:5], v[4:5], v[60:61]                      // 000000005F4C: D3B14004 18027904
	v_pk_mul_f32 v[6:7], v[6:7], v[62:63]                      // 000000005F54: D3B14006 18027D06
	v_pk_mul_f32 v[4:5], v[4:5], s[60:61]                      // 000000005F5C: D3B14004 18007904
	v_pk_mul_f32 v[6:7], v[6:7], s[60:61]                      // 000000005F64: D3B14006 18007906
	v_exp_f32_e32 v4, v4                                       // 000000005F6C: 7E084104
	v_exp_f32_e32 v5, v5                                       // 000000005F70: 7E0A4105
	v_exp_f32_e32 v6, v6                                       // 000000005F74: 7E0C4106
	v_exp_f32_e32 v7, v7                                       // 000000005F78: 7E0E4107
	v_add_f32_e64 v4, v4, 1.0                                  // 000000005F7C: D1010004 0001E504
	v_add_f32_e64 v5, v5, 1.0                                  // 000000005F84: D1010005 0001E505
	v_add_f32_e64 v6, v6, 1.0                                  // 000000005F8C: D1010006 0001E506
	v_add_f32_e64 v7, v7, 1.0                                  // 000000005F94: D1010007 0001E507
	v_rcp_f32_e32 v4, v4                                       // 000000005F9C: 7E084504
	v_rcp_f32_e32 v5, v5                                       // 000000005FA0: 7E0A4505
	v_rcp_f32_e32 v6, v6                                       // 000000005FA4: 7E0C4506
	v_rcp_f32_e32 v7, v7                                       // 000000005FA8: 7E0E4507
	v_mul_f32_e32 v60, v60, v4                                 // 000000005FAC: 0A78093C
	v_mul_f32_e32 v61, v61, v5                                 // 000000005FB0: 0A7A0B3D
	v_mul_f32_e32 v62, v62, v6                                 // 000000005FB4: 0A7C0D3E
	v_mul_f32_e32 v63, v63, v7                                 // 000000005FB8: 0A7E0F3F
	v_mul_f32_e32 v60, v60, v72                                // 000000005FBC: 0A78913C
	v_mul_f32_e32 v61, v61, v73                                // 000000005FC0: 0A7A933D
	v_mul_f32_e32 v62, v62, v74                                // 000000005FC4: 0A7C953E
	v_mul_f32_e32 v63, v63, v75                                // 000000005FC8: 0A7E973F
	s_branch label_0DD7                                        // 000000005FCC: BF820060

0000000000005fd0 <label_0D77>:
	v_mul_f32_e64 v4, -v52, s6                                 // 000000005FD0: D1050004 20000D34
	v_mul_f32_e64 v5, -v53, s6                                 // 000000005FD8: D1050005 20000D35
	v_mul_f32_e64 v6, -v54, s6                                 // 000000005FE0: D1050006 20000D36
	v_mul_f32_e64 v7, -v55, s6                                 // 000000005FE8: D1050007 20000D37
	v_exp_f32_e32 v4, v4                                       // 000000005FF0: 7E084104
	v_exp_f32_e32 v5, v5                                       // 000000005FF4: 7E0A4105
	v_exp_f32_e32 v6, v6                                       // 000000005FF8: 7E0C4106
	v_exp_f32_e32 v7, v7                                       // 000000005FFC: 7E0E4107
	v_add_f32_e64 v4, v4, 1.0                                  // 000000006000: D1010004 0001E504
	v_add_f32_e64 v5, v5, 1.0                                  // 000000006008: D1010005 0001E505
	v_add_f32_e64 v6, v6, 1.0                                  // 000000006010: D1010006 0001E506
	v_add_f32_e64 v7, v7, 1.0                                  // 000000006018: D1010007 0001E507
	v_rcp_f32_e32 v4, v4                                       // 000000006020: 7E084504
	v_rcp_f32_e32 v5, v5                                       // 000000006024: 7E0A4505
	v_rcp_f32_e32 v6, v6                                       // 000000006028: 7E0C4506
	v_rcp_f32_e32 v7, v7                                       // 00000000602C: 7E0E4507
	v_mul_f32_e32 v52, v52, v4                                 // 000000006030: 0A680934
	v_mul_f32_e32 v53, v53, v5                                 // 000000006034: 0A6A0B35
	v_mul_f32_e32 v54, v54, v6                                 // 000000006038: 0A6C0D36
	v_mul_f32_e32 v55, v55, v7                                 // 00000000603C: 0A6E0F37
	v_mul_f32_e32 v52, v52, v64                                // 000000006040: 0A688134
	v_mul_f32_e32 v53, v53, v65                                // 000000006044: 0A6A8335
	v_mul_f32_e32 v54, v54, v66                                // 000000006048: 0A6C8536
	v_mul_f32_e32 v55, v55, v67                                // 00000000604C: 0A6E8737
	v_mul_f32_e64 v4, -v56, s6                                 // 000000006050: D1050004 20000D38
	v_mul_f32_e64 v5, -v57, s6                                 // 000000006058: D1050005 20000D39
	v_mul_f32_e64 v6, -v58, s6                                 // 000000006060: D1050006 20000D3A
	v_mul_f32_e64 v7, -v59, s6                                 // 000000006068: D1050007 20000D3B
	v_exp_f32_e32 v4, v4                                       // 000000006070: 7E084104
	v_exp_f32_e32 v5, v5                                       // 000000006074: 7E0A4105
	v_exp_f32_e32 v6, v6                                       // 000000006078: 7E0C4106
	v_exp_f32_e32 v7, v7                                       // 00000000607C: 7E0E4107
	v_add_f32_e64 v4, v4, 1.0                                  // 000000006080: D1010004 0001E504
	v_add_f32_e64 v5, v5, 1.0                                  // 000000006088: D1010005 0001E505
	v_add_f32_e64 v6, v6, 1.0                                  // 000000006090: D1010006 0001E506
	v_add_f32_e64 v7, v7, 1.0                                  // 000000006098: D1010007 0001E507
	v_rcp_f32_e32 v4, v4                                       // 0000000060A0: 7E084504
	v_rcp_f32_e32 v5, v5                                       // 0000000060A4: 7E0A4505
	v_rcp_f32_e32 v6, v6                                       // 0000000060A8: 7E0C4506
	v_rcp_f32_e32 v7, v7                                       // 0000000060AC: 7E0E4507
	v_mul_f32_e32 v56, v56, v4                                 // 0000000060B0: 0A700938
	v_mul_f32_e32 v57, v57, v5                                 // 0000000060B4: 0A720B39
	v_mul_f32_e32 v58, v58, v6                                 // 0000000060B8: 0A740D3A
	v_mul_f32_e32 v59, v59, v7                                 // 0000000060BC: 0A760F3B
	v_mul_f32_e32 v56, v56, v68                                // 0000000060C0: 0A708938
	v_mul_f32_e32 v57, v57, v69                                // 0000000060C4: 0A728B39
	v_mul_f32_e32 v58, v58, v70                                // 0000000060C8: 0A748D3A
	v_mul_f32_e32 v59, v59, v71                                // 0000000060CC: 0A768F3B
	v_mul_f32_e64 v4, -v60, s6                                 // 0000000060D0: D1050004 20000D3C
	v_mul_f32_e64 v5, -v61, s6                                 // 0000000060D8: D1050005 20000D3D
	v_mul_f32_e64 v6, -v62, s6                                 // 0000000060E0: D1050006 20000D3E
	v_mul_f32_e64 v7, -v63, s6                                 // 0000000060E8: D1050007 20000D3F
	v_exp_f32_e32 v4, v4                                       // 0000000060F0: 7E084104
	v_exp_f32_e32 v5, v5                                       // 0000000060F4: 7E0A4105
	v_exp_f32_e32 v6, v6                                       // 0000000060F8: 7E0C4106
	v_exp_f32_e32 v7, v7                                       // 0000000060FC: 7E0E4107
	v_add_f32_e64 v4, v4, 1.0                                  // 000000006100: D1010004 0001E504
	v_add_f32_e64 v5, v5, 1.0                                  // 000000006108: D1010005 0001E505
	v_add_f32_e64 v6, v6, 1.0                                  // 000000006110: D1010006 0001E506
	v_add_f32_e64 v7, v7, 1.0                                  // 000000006118: D1010007 0001E507
	v_rcp_f32_e32 v4, v4                                       // 000000006120: 7E084504
	v_rcp_f32_e32 v5, v5                                       // 000000006124: 7E0A4505
	v_rcp_f32_e32 v6, v6                                       // 000000006128: 7E0C4506
	v_rcp_f32_e32 v7, v7                                       // 00000000612C: 7E0E4507
	v_mul_f32_e32 v60, v60, v4                                 // 000000006130: 0A78093C
	v_mul_f32_e32 v61, v61, v5                                 // 000000006134: 0A7A0B3D
	v_mul_f32_e32 v62, v62, v6                                 // 000000006138: 0A7C0D3E
	v_mul_f32_e32 v63, v63, v7                                 // 00000000613C: 0A7E0F3F
	v_mul_f32_e32 v60, v60, v72                                // 000000006140: 0A78913C
	v_mul_f32_e32 v61, v61, v73                                // 000000006144: 0A7A933D
	v_mul_f32_e32 v62, v62, v74                                // 000000006148: 0A7C953E
	v_mul_f32_e32 v63, v63, v75                                // 00000000614C: 0A7E973F

0000000000006150 <label_0DD7>:
	v_cmp_u_f32_e64 s[46:47], v52, v52                         // 000000006150: D048002E 00026934
	v_add3_u32 v16, v52, v19, 1                                // 000000006158: D1FF0010 02062734
	v_cndmask_b32_e64 v4, v16, v18, s[46:47]                   // 000000006160: D1000004 00BA2510
	v_cmp_u_f32_e64 s[46:47], v53, v53                         // 000000006168: D048002E 00026B35
	v_add3_u32 v16, v53, v19, 1                                // 000000006170: D1FF0010 02062735
	v_cndmask_b32_e64 v5, v16, v18, s[46:47]                   // 000000006178: D1000005 00BA2510
	v_perm_b32 v52, v5, v4, s52                                // 000000006180: D1ED0034 00D20905
	v_cmp_u_f32_e64 s[46:47], v54, v54                         // 000000006188: D048002E 00026D36
	v_add3_u32 v16, v54, v19, 1                                // 000000006190: D1FF0010 02062736
	v_cndmask_b32_e64 v4, v16, v18, s[46:47]                   // 000000006198: D1000004 00BA2510
	v_cmp_u_f32_e64 s[46:47], v55, v55                         // 0000000061A0: D048002E 00026F37
	v_add3_u32 v16, v55, v19, 1                                // 0000000061A8: D1FF0010 02062737
	v_cndmask_b32_e64 v5, v16, v18, s[46:47]                   // 0000000061B0: D1000005 00BA2510
	v_perm_b32 v53, v5, v4, s52                                // 0000000061B8: D1ED0035 00D20905
	v_cmp_u_f32_e64 s[46:47], v56, v56                         // 0000000061C0: D048002E 00027138
	v_add3_u32 v16, v56, v19, 1                                // 0000000061C8: D1FF0010 02062738
	v_cndmask_b32_e64 v4, v16, v18, s[46:47]                   // 0000000061D0: D1000004 00BA2510
	v_cmp_u_f32_e64 s[46:47], v57, v57                         // 0000000061D8: D048002E 00027339
	v_add3_u32 v16, v57, v19, 1                                // 0000000061E0: D1FF0010 02062739
	v_cndmask_b32_e64 v5, v16, v18, s[46:47]                   // 0000000061E8: D1000005 00BA2510
	v_perm_b32 v54, v5, v4, s52                                // 0000000061F0: D1ED0036 00D20905
	v_cmp_u_f32_e64 s[46:47], v58, v58                         // 0000000061F8: D048002E 0002753A
	v_add3_u32 v16, v58, v19, 1                                // 000000006200: D1FF0010 0206273A
	v_cndmask_b32_e64 v4, v16, v18, s[46:47]                   // 000000006208: D1000004 00BA2510
	v_cmp_u_f32_e64 s[46:47], v59, v59                         // 000000006210: D048002E 0002773B
	v_add3_u32 v16, v59, v19, 1                                // 000000006218: D1FF0010 0206273B
	v_cndmask_b32_e64 v5, v16, v18, s[46:47]                   // 000000006220: D1000005 00BA2510
	v_perm_b32 v55, v5, v4, s52                                // 000000006228: D1ED0037 00D20905
	v_cmp_u_f32_e64 s[46:47], v60, v60                         // 000000006230: D048002E 0002793C
	v_add3_u32 v16, v60, v19, 1                                // 000000006238: D1FF0010 0206273C
	v_cndmask_b32_e64 v4, v16, v18, s[46:47]                   // 000000006240: D1000004 00BA2510
	v_cmp_u_f32_e64 s[46:47], v61, v61                         // 000000006248: D048002E 00027B3D
	v_add3_u32 v16, v61, v19, 1                                // 000000006250: D1FF0010 0206273D
	v_cndmask_b32_e64 v5, v16, v18, s[46:47]                   // 000000006258: D1000005 00BA2510
	v_perm_b32 v56, v5, v4, s52                                // 000000006260: D1ED0038 00D20905
	v_cmp_u_f32_e64 s[46:47], v62, v62                         // 000000006268: D048002E 00027D3E
	v_add3_u32 v16, v62, v19, 1                                // 000000006270: D1FF0010 0206273E
	v_cndmask_b32_e64 v4, v16, v18, s[46:47]                   // 000000006278: D1000004 00BA2510
	v_cmp_u_f32_e64 s[46:47], v63, v63                         // 000000006280: D048002E 00027F3F
	v_add3_u32 v16, v63, v19, 1                                // 000000006288: D1FF0010 0206273F
	v_cndmask_b32_e64 v5, v16, v18, s[46:47]                   // 000000006290: D1000005 00BA2510
	v_perm_b32 v57, v5, v4, s52                                // 000000006298: D1ED0039 00D20905
	ds_write_b64 v20, v[52:53]                                 // 0000000062A0: D89A0000 00003414
	ds_write_b64 v20, v[54:55] offset:2176                     // 0000000062A8: D89A0880 00003614
	ds_write_b64 v20, v[56:57] offset:4352                     // 0000000062B0: D89A1100 00003814
	v_lshrrev_b32_e32 v4, 5, v0                                // 0000000062B8: 20080085
	v_xor_b32_e32 v5, 1, v4                                    // 0000000062BC: 2A0A0881
	s_mul_i32 s60, s65, 2                                      // 0000000062C0: 923C8241
	s_cmp_eq_u32 s88, 0                                        // 0000000062C4: BF068058
	s_cselect_b32 s61, 1, 4                                    // 0000000062C8: 853D8481
	s_mul_i32 s60, s61, s60                                    // 0000000062CC: 923C3C3D
	v_readlane_b32 s82, v3, 0                                  // 0000000062D0: D2890052 00010103
	s_lshr_b32 s61, s82, 24                                    // 0000000062D8: 8F3D9852
	s_and_b32 s82, s82, 0xffffff                               // 0000000062DC: 8652FF52 00FFFFFF
	s_mul_i32 s82, s82, s71                                    // 0000000062E4: 92524752
	s_mul_i32 s61, s60, s61                                    // 0000000062E8: 923D3D3C
	s_add_u32 s82, s82, s61                                    // 0000000062EC: 80523D52
	v_mul_lo_u32 v6, v5, s82                                   // 0000000062F0: D2850006 0000A505
	v_readlane_b32 s82, v3, 1                                  // 0000000062F8: D2890052 00010303
	s_lshr_b32 s61, s82, 24                                    // 000000006300: 8F3D9852
	s_and_b32 s82, s82, 0xffffff                               // 000000006304: 8652FF52 00FFFFFF
	s_mul_i32 s82, s82, s71                                    // 00000000630C: 92524752
	s_mul_i32 s61, s60, s61                                    // 000000006310: 923D3D3C
	s_add_u32 s82, s82, s61                                    // 000000006314: 80523D52
	v_mul_lo_u32 v7, v4, s82                                   // 000000006318: D2850007 0000A504
	v_add_u32_e32 v42, v6, v7                                  // 000000006320: 68540F06
	v_readlane_b32 s82, v3, 2                                  // 000000006324: D2890052 00010503
	s_lshr_b32 s61, s82, 24                                    // 00000000632C: 8F3D9852
	s_and_b32 s82, s82, 0xffffff                               // 000000006330: 8652FF52 00FFFFFF
	s_mul_i32 s82, s82, s71                                    // 000000006338: 92524752
	s_mul_i32 s61, s60, s61                                    // 00000000633C: 923D3D3C
	s_add_u32 s82, s82, s61                                    // 000000006340: 80523D52
	v_mul_lo_u32 v6, v5, s82                                   // 000000006344: D2850006 0000A505
	v_readlane_b32 s82, v3, 3                                  // 00000000634C: D2890052 00010703
	s_lshr_b32 s61, s82, 24                                    // 000000006354: 8F3D9852
	s_and_b32 s82, s82, 0xffffff                               // 000000006358: 8652FF52 00FFFFFF
	s_mul_i32 s82, s82, s71                                    // 000000006360: 92524752
	s_mul_i32 s61, s60, s61                                    // 000000006364: 923D3D3C
	s_add_u32 s82, s82, s61                                    // 000000006368: 80523D52
	v_mul_lo_u32 v7, v4, s82                                   // 00000000636C: D2850007 0000A504
	v_add_u32_e32 v43, v6, v7                                  // 000000006374: 68560F06
	v_readlane_b32 s82, v3, 4                                  // 000000006378: D2890052 00010903
	s_lshr_b32 s61, s82, 24                                    // 000000006380: 8F3D9852
	s_and_b32 s82, s82, 0xffffff                               // 000000006384: 8652FF52 00FFFFFF
	s_mul_i32 s82, s82, s71                                    // 00000000638C: 92524752
	s_mul_i32 s61, s60, s61                                    // 000000006390: 923D3D3C
	s_add_u32 s82, s82, s61                                    // 000000006394: 80523D52
	v_mul_lo_u32 v6, v5, s82                                   // 000000006398: D2850006 0000A505
	v_readlane_b32 s82, v3, 5                                  // 0000000063A0: D2890052 00010B03
	s_lshr_b32 s61, s82, 24                                    // 0000000063A8: 8F3D9852
	s_and_b32 s82, s82, 0xffffff                               // 0000000063AC: 8652FF52 00FFFFFF
	s_mul_i32 s82, s82, s71                                    // 0000000063B4: 92524752
	s_mul_i32 s61, s60, s61                                    // 0000000063B8: 923D3D3C
	s_add_u32 s82, s82, s61                                    // 0000000063BC: 80523D52
	v_mul_lo_u32 v7, v4, s82                                   // 0000000063C0: D2850007 0000A504
	v_add_u32_e32 v44, v6, v7                                  // 0000000063C8: 68580F06
	v_readlane_b32 s82, v3, 6                                  // 0000000063CC: D2890052 00010D03
	s_lshr_b32 s61, s82, 24                                    // 0000000063D4: 8F3D9852
	s_and_b32 s82, s82, 0xffffff                               // 0000000063D8: 8652FF52 00FFFFFF
	s_mul_i32 s82, s82, s71                                    // 0000000063E0: 92524752
	s_mul_i32 s61, s60, s61                                    // 0000000063E4: 923D3D3C
	s_add_u32 s82, s82, s61                                    // 0000000063E8: 80523D52
	v_mul_lo_u32 v6, v5, s82                                   // 0000000063EC: D2850006 0000A505
	v_readlane_b32 s82, v3, 7                                  // 0000000063F4: D2890052 00010F03
	s_lshr_b32 s61, s82, 24                                    // 0000000063FC: 8F3D9852
	s_and_b32 s82, s82, 0xffffff                               // 000000006400: 8652FF52 00FFFFFF
	s_mul_i32 s82, s82, s71                                    // 000000006408: 92524752
	s_mul_i32 s61, s60, s61                                    // 00000000640C: 923D3D3C
	s_add_u32 s82, s82, s61                                    // 000000006410: 80523D52
	v_mul_lo_u32 v7, v4, s82                                   // 000000006414: D2850007 0000A504
	v_add_u32_e32 v45, v6, v7                                  // 00000000641C: 685A0F06
	v_readlane_b32 s82, v3, 8                                  // 000000006420: D2890052 00011103
	s_lshr_b32 s61, s82, 24                                    // 000000006428: 8F3D9852
	s_and_b32 s82, s82, 0xffffff                               // 00000000642C: 8652FF52 00FFFFFF
	s_mul_i32 s82, s82, s71                                    // 000000006434: 92524752
	s_mul_i32 s61, s60, s61                                    // 000000006438: 923D3D3C
	s_add_u32 s82, s82, s61                                    // 00000000643C: 80523D52
	v_mul_lo_u32 v6, v5, s82                                   // 000000006440: D2850006 0000A505
	v_readlane_b32 s82, v3, 9                                  // 000000006448: D2890052 00011303
	s_lshr_b32 s61, s82, 24                                    // 000000006450: 8F3D9852
	s_and_b32 s82, s82, 0xffffff                               // 000000006454: 8652FF52 00FFFFFF
	s_mul_i32 s82, s82, s71                                    // 00000000645C: 92524752
	s_mul_i32 s61, s60, s61                                    // 000000006460: 923D3D3C
	s_add_u32 s82, s82, s61                                    // 000000006464: 80523D52
	v_mul_lo_u32 v7, v4, s82                                   // 000000006468: D2850007 0000A504
	v_add_u32_e32 v46, v6, v7                                  // 000000006470: 685C0F06
	v_readlane_b32 s82, v3, 10                                 // 000000006474: D2890052 00011503
	s_lshr_b32 s61, s82, 24                                    // 00000000647C: 8F3D9852
	s_and_b32 s82, s82, 0xffffff                               // 000000006480: 8652FF52 00FFFFFF
	s_mul_i32 s82, s82, s71                                    // 000000006488: 92524752
	s_mul_i32 s61, s60, s61                                    // 00000000648C: 923D3D3C
	s_add_u32 s82, s82, s61                                    // 000000006490: 80523D52
	v_mul_lo_u32 v6, v5, s82                                   // 000000006494: D2850006 0000A505
	v_readlane_b32 s82, v3, 11                                 // 00000000649C: D2890052 00011703
	s_lshr_b32 s61, s82, 24                                    // 0000000064A4: 8F3D9852
	s_and_b32 s82, s82, 0xffffff                               // 0000000064A8: 8652FF52 00FFFFFF
	s_mul_i32 s82, s82, s71                                    // 0000000064B0: 92524752
	s_mul_i32 s61, s60, s61                                    // 0000000064B4: 923D3D3C
	s_add_u32 s82, s82, s61                                    // 0000000064B8: 80523D52
	v_mul_lo_u32 v7, v4, s82                                   // 0000000064BC: D2850007 0000A504
	v_add_u32_e32 v47, v6, v7                                  // 0000000064C4: 685E0F06
	v_and_b32_e32 v4, 31, v0                                   // 0000000064C8: 2608009F
	v_lshrrev_b32_e32 v4, 1, v4                                // 0000000064CC: 20080881
	s_cmp_eq_u32 s88, 0                                        // 0000000064D0: BF068058
	s_cselect_b32 s61, 2, 4                                    // 0000000064D4: 853D8482
	v_mul_lo_u32 v4, v4, s61                                   // 0000000064D8: D2850004 00007B04
	v_and_b32_e64 v5, v0, 1                                    // 0000000064E0: D1130005 00010300
	v_add_u32_e32 v4, v4, v5                                   // 0000000064E8: 68080B04
	v_lshlrev_b32_e32 v4, 2, v4                                // 0000000064EC: 24080882
	v_add_u32_e32 v42, v42, v4                                 // 0000000064F0: 6854092A
	v_add_u32_e32 v43, v43, v4                                 // 0000000064F4: 6856092B
	v_add_u32_e32 v44, v44, v4                                 // 0000000064F8: 6858092C
	v_add_u32_e32 v45, v45, v4                                 // 0000000064FC: 685A092D
	v_add_u32_e32 v46, v46, v4                                 // 000000006500: 685C092E
	v_add_u32_e32 v47, v47, v4                                 // 000000006504: 685E092F
	s_waitcnt lgkmcnt(0)                                       // 000000006508: BF8CC07F
	s_barrier                                                  // 00000000650C: BF8A0000
	ds_read_b32 v52, v21                                       // 000000006510: D86C0000 34000015
	ds_read_b32 v53, v21 offset:64                             // 000000006518: D86C0040 35000015
	ds_read_b32 v54, v21 offset:2176                           // 000000006520: D86C0880 36000015
	ds_read_b32 v55, v21 offset:2240                           // 000000006528: D86C08C0 37000015
	ds_read_b32 v56, v21 offset:4352                           // 000000006530: D86C1100 38000015
	ds_read_b32 v57, v21 offset:4416                           // 000000006538: D86C1140 39000015
	s_waitcnt lgkmcnt(0)                                       // 000000006540: BF8CC07F
	s_mov_b32 s36, -1                                          // 000000006544: BEA400C1
	s_mov_b32 s37, -1                                          // 000000006548: BEA500C1
	v_mov_b32_e32 v7, 0                                        // 00000000654C: 7E0E0280
	s_or_b32 s9, s9, 0x40000                                   // 000000006550: 8709FF09 00040000
	s_mov_b64 exec, s[36:37]                                   // 000000006558: BEFE0124
	v_mov_b32_e32 v6, v42                                      // 00000000655C: 7E0C032A
	s_mov_b64 s[60:61], 0                                      // 000000006560: BEBC0180
	v_readlane_b32 s82, v3, 0                                  // 000000006564: D2890052 00010103
	s_and_b32 s82, s82, 0xffffff                               // 00000000656C: 8652FF52 00FFFFFF
	s_cmp_lt_u32 s82, s66                                      // 000000006574: BF0A4252
	s_cselect_b32 s20, s36, s60                                // 000000006578: 85143C24
	v_readlane_b32 s82, v3, 1                                  // 00000000657C: D2890052 00010303
	s_and_b32 s82, s82, 0xffffff                               // 000000006584: 8652FF52 00FFFFFF
	s_cmp_lt_u32 s82, s66                                      // 00000000658C: BF0A4252
	s_cselect_b32 s21, s36, s60                                // 000000006590: 85153C24
	s_mov_b64 exec, s[20:21]                                   // 000000006594: BEFE0114
	buffer_store_dword v52, v6, s[8:11], 0 offen               // 000000006598: E0701000 80023406
	s_mov_b64 exec, s[36:37]                                   // 0000000065A0: BEFE0124
	v_mov_b32_e32 v6, v43                                      // 0000000065A4: 7E0C032B
	s_mov_b64 s[60:61], 0                                      // 0000000065A8: BEBC0180
	v_readlane_b32 s82, v3, 2                                  // 0000000065AC: D2890052 00010503
	s_and_b32 s82, s82, 0xffffff                               // 0000000065B4: 8652FF52 00FFFFFF
	s_cmp_lt_u32 s82, s66                                      // 0000000065BC: BF0A4252
	s_cselect_b32 s20, s36, s60                                // 0000000065C0: 85143C24
	v_readlane_b32 s82, v3, 3                                  // 0000000065C4: D2890052 00010703
	s_and_b32 s82, s82, 0xffffff                               // 0000000065CC: 8652FF52 00FFFFFF
	s_cmp_lt_u32 s82, s66                                      // 0000000065D4: BF0A4252
	s_cselect_b32 s21, s36, s60                                // 0000000065D8: 85153C24
	s_mov_b64 exec, s[20:21]                                   // 0000000065DC: BEFE0114
	buffer_store_dword v53, v6, s[8:11], 0 offen               // 0000000065E0: E0701000 80023506
	s_mov_b64 exec, s[36:37]                                   // 0000000065E8: BEFE0124
	v_mov_b32_e32 v6, v44                                      // 0000000065EC: 7E0C032C
	s_mov_b64 s[60:61], 0                                      // 0000000065F0: BEBC0180
	v_readlane_b32 s82, v3, 4                                  // 0000000065F4: D2890052 00010903
	s_and_b32 s82, s82, 0xffffff                               // 0000000065FC: 8652FF52 00FFFFFF
	s_cmp_lt_u32 s82, s66                                      // 000000006604: BF0A4252
	s_cselect_b32 s20, s36, s60                                // 000000006608: 85143C24
	v_readlane_b32 s82, v3, 5                                  // 00000000660C: D2890052 00010B03
	s_and_b32 s82, s82, 0xffffff                               // 000000006614: 8652FF52 00FFFFFF
	s_cmp_lt_u32 s82, s66                                      // 00000000661C: BF0A4252
	s_cselect_b32 s21, s36, s60                                // 000000006620: 85153C24
	s_mov_b64 exec, s[20:21]                                   // 000000006624: BEFE0114
	buffer_store_dword v54, v6, s[8:11], 0 offen               // 000000006628: E0701000 80023606
	s_mov_b64 exec, s[36:37]                                   // 000000006630: BEFE0124
	v_mov_b32_e32 v6, v45                                      // 000000006634: 7E0C032D
	s_mov_b64 s[60:61], 0                                      // 000000006638: BEBC0180
	v_readlane_b32 s82, v3, 6                                  // 00000000663C: D2890052 00010D03
	s_and_b32 s82, s82, 0xffffff                               // 000000006644: 8652FF52 00FFFFFF
	s_cmp_lt_u32 s82, s66                                      // 00000000664C: BF0A4252
	s_cselect_b32 s20, s36, s60                                // 000000006650: 85143C24
	v_readlane_b32 s82, v3, 7                                  // 000000006654: D2890052 00010F03
	s_and_b32 s82, s82, 0xffffff                               // 00000000665C: 8652FF52 00FFFFFF
	s_cmp_lt_u32 s82, s66                                      // 000000006664: BF0A4252
	s_cselect_b32 s21, s36, s60                                // 000000006668: 85153C24
	s_mov_b64 exec, s[20:21]                                   // 00000000666C: BEFE0114
	buffer_store_dword v55, v6, s[8:11], 0 offen               // 000000006670: E0701000 80023706
	s_mov_b64 exec, s[36:37]                                   // 000000006678: BEFE0124
	v_mov_b32_e32 v6, v46                                      // 00000000667C: 7E0C032E
	s_mov_b64 s[60:61], 0                                      // 000000006680: BEBC0180
	v_readlane_b32 s82, v3, 8                                  // 000000006684: D2890052 00011103
	s_and_b32 s82, s82, 0xffffff                               // 00000000668C: 8652FF52 00FFFFFF
	s_cmp_lt_u32 s82, s66                                      // 000000006694: BF0A4252
	s_cselect_b32 s20, s36, s60                                // 000000006698: 85143C24
	v_readlane_b32 s82, v3, 9                                  // 00000000669C: D2890052 00011303
	s_and_b32 s82, s82, 0xffffff                               // 0000000066A4: 8652FF52 00FFFFFF
	s_cmp_lt_u32 s82, s66                                      // 0000000066AC: BF0A4252
	s_cselect_b32 s21, s36, s60                                // 0000000066B0: 85153C24
	s_mov_b64 exec, s[20:21]                                   // 0000000066B4: BEFE0114
	buffer_store_dword v56, v6, s[8:11], 0 offen               // 0000000066B8: E0701000 80023806
	s_mov_b64 exec, s[36:37]                                   // 0000000066C0: BEFE0124
	v_mov_b32_e32 v6, v47                                      // 0000000066C4: 7E0C032F
	s_mov_b64 s[60:61], 0                                      // 0000000066C8: BEBC0180
	v_readlane_b32 s82, v3, 10                                 // 0000000066CC: D2890052 00011503
	s_and_b32 s82, s82, 0xffffff                               // 0000000066D4: 8652FF52 00FFFFFF
	s_cmp_lt_u32 s82, s66                                      // 0000000066DC: BF0A4252
	s_cselect_b32 s20, s36, s60                                // 0000000066E0: 85143C24
	v_readlane_b32 s82, v3, 11                                 // 0000000066E4: D2890052 00011703
	s_and_b32 s82, s82, 0xffffff                               // 0000000066EC: 8652FF52 00FFFFFF
	s_cmp_lt_u32 s82, s66                                      // 0000000066F4: BF0A4252
	s_cselect_b32 s21, s36, s60                                // 0000000066F8: 85153C24
	s_mov_b64 exec, s[20:21]                                   // 0000000066FC: BEFE0114
	buffer_store_dword v57, v6, s[8:11], 0 offen               // 000000006700: E0701000 80023906
	s_mov_b64 exec, s[36:37]                                   // 000000006708: BEFE0124
	s_branch label_11ED                                        // 00000000670C: BF8202A6

0000000000006710 <label_0F47>:
	ds_write_b64 v20, v[52:53]                                 // 000000006710: D89A0000 00003414
	ds_write_b64 v20, v[56:57] offset:2176                     // 000000006718: D89A0880 00003814
	ds_write_b64 v20, v[60:61] offset:4352                     // 000000006720: D89A1100 00003C14
	v_lshrrev_b32_e32 v4, 5, v0                                // 000000006728: 20080085
	v_xor_b32_e32 v5, 1, v4                                    // 00000000672C: 2A0A0881
	s_mul_i32 s60, s65, 2                                      // 000000006730: 923C8241
	s_cmp_eq_u32 s88, 0                                        // 000000006734: BF068058
	s_cselect_b32 s61, 1, 4                                    // 000000006738: 853D8481
	s_mul_i32 s60, s61, s60                                    // 00000000673C: 923C3C3D
	v_readlane_b32 s82, v3, 0                                  // 000000006740: D2890052 00010103
	s_lshr_b32 s61, s82, 24                                    // 000000006748: 8F3D9852
	s_and_b32 s82, s82, 0xffffff                               // 00000000674C: 8652FF52 00FFFFFF
	s_mul_i32 s82, s82, s71                                    // 000000006754: 92524752
	s_mul_i32 s61, s60, s61                                    // 000000006758: 923D3D3C
	s_add_u32 s82, s82, s61                                    // 00000000675C: 80523D52
	v_mul_lo_u32 v6, v5, s82                                   // 000000006760: D2850006 0000A505
	v_readlane_b32 s82, v3, 1                                  // 000000006768: D2890052 00010303
	s_lshr_b32 s61, s82, 24                                    // 000000006770: 8F3D9852
	s_and_b32 s82, s82, 0xffffff                               // 000000006774: 8652FF52 00FFFFFF
	s_mul_i32 s82, s82, s71                                    // 00000000677C: 92524752
	s_mul_i32 s61, s60, s61                                    // 000000006780: 923D3D3C
	s_add_u32 s82, s82, s61                                    // 000000006784: 80523D52
	v_mul_lo_u32 v7, v4, s82                                   // 000000006788: D2850007 0000A504
	v_add_u32_e32 v42, v6, v7                                  // 000000006790: 68540F06
	v_readlane_b32 s82, v3, 2                                  // 000000006794: D2890052 00010503
	s_lshr_b32 s61, s82, 24                                    // 00000000679C: 8F3D9852
	s_and_b32 s82, s82, 0xffffff                               // 0000000067A0: 8652FF52 00FFFFFF
	s_mul_i32 s82, s82, s71                                    // 0000000067A8: 92524752
	s_mul_i32 s61, s60, s61                                    // 0000000067AC: 923D3D3C
	s_add_u32 s82, s82, s61                                    // 0000000067B0: 80523D52
	v_mul_lo_u32 v6, v5, s82                                   // 0000000067B4: D2850006 0000A505
	v_readlane_b32 s82, v3, 3                                  // 0000000067BC: D2890052 00010703
	s_lshr_b32 s61, s82, 24                                    // 0000000067C4: 8F3D9852
	s_and_b32 s82, s82, 0xffffff                               // 0000000067C8: 8652FF52 00FFFFFF
	s_mul_i32 s82, s82, s71                                    // 0000000067D0: 92524752
	s_mul_i32 s61, s60, s61                                    // 0000000067D4: 923D3D3C
	s_add_u32 s82, s82, s61                                    // 0000000067D8: 80523D52
	v_mul_lo_u32 v7, v4, s82                                   // 0000000067DC: D2850007 0000A504
	v_add_u32_e32 v43, v6, v7                                  // 0000000067E4: 68560F06
	v_readlane_b32 s82, v3, 4                                  // 0000000067E8: D2890052 00010903
	s_lshr_b32 s61, s82, 24                                    // 0000000067F0: 8F3D9852
	s_and_b32 s82, s82, 0xffffff                               // 0000000067F4: 8652FF52 00FFFFFF
	s_mul_i32 s82, s82, s71                                    // 0000000067FC: 92524752
	s_mul_i32 s61, s60, s61                                    // 000000006800: 923D3D3C
	s_add_u32 s82, s82, s61                                    // 000000006804: 80523D52
	v_mul_lo_u32 v6, v5, s82                                   // 000000006808: D2850006 0000A505
	v_readlane_b32 s82, v3, 5                                  // 000000006810: D2890052 00010B03
	s_lshr_b32 s61, s82, 24                                    // 000000006818: 8F3D9852
	s_and_b32 s82, s82, 0xffffff                               // 00000000681C: 8652FF52 00FFFFFF
	s_mul_i32 s82, s82, s71                                    // 000000006824: 92524752
	s_mul_i32 s61, s60, s61                                    // 000000006828: 923D3D3C
	s_add_u32 s82, s82, s61                                    // 00000000682C: 80523D52
	v_mul_lo_u32 v7, v4, s82                                   // 000000006830: D2850007 0000A504
	v_add_u32_e32 v44, v6, v7                                  // 000000006838: 68580F06
	v_readlane_b32 s82, v3, 6                                  // 00000000683C: D2890052 00010D03
	s_lshr_b32 s61, s82, 24                                    // 000000006844: 8F3D9852
	s_and_b32 s82, s82, 0xffffff                               // 000000006848: 8652FF52 00FFFFFF
	s_mul_i32 s82, s82, s71                                    // 000000006850: 92524752
	s_mul_i32 s61, s60, s61                                    // 000000006854: 923D3D3C
	s_add_u32 s82, s82, s61                                    // 000000006858: 80523D52
	v_mul_lo_u32 v6, v5, s82                                   // 00000000685C: D2850006 0000A505
	v_readlane_b32 s82, v3, 7                                  // 000000006864: D2890052 00010F03
	s_lshr_b32 s61, s82, 24                                    // 00000000686C: 8F3D9852
	s_and_b32 s82, s82, 0xffffff                               // 000000006870: 8652FF52 00FFFFFF
	s_mul_i32 s82, s82, s71                                    // 000000006878: 92524752
	s_mul_i32 s61, s60, s61                                    // 00000000687C: 923D3D3C
	s_add_u32 s82, s82, s61                                    // 000000006880: 80523D52
	v_mul_lo_u32 v7, v4, s82                                   // 000000006884: D2850007 0000A504
	v_add_u32_e32 v45, v6, v7                                  // 00000000688C: 685A0F06
	v_readlane_b32 s82, v3, 8                                  // 000000006890: D2890052 00011103
	s_lshr_b32 s61, s82, 24                                    // 000000006898: 8F3D9852
	s_and_b32 s82, s82, 0xffffff                               // 00000000689C: 8652FF52 00FFFFFF
	s_mul_i32 s82, s82, s71                                    // 0000000068A4: 92524752
	s_mul_i32 s61, s60, s61                                    // 0000000068A8: 923D3D3C
	s_add_u32 s82, s82, s61                                    // 0000000068AC: 80523D52
	v_mul_lo_u32 v6, v5, s82                                   // 0000000068B0: D2850006 0000A505
	v_readlane_b32 s82, v3, 9                                  // 0000000068B8: D2890052 00011303
	s_lshr_b32 s61, s82, 24                                    // 0000000068C0: 8F3D9852
	s_and_b32 s82, s82, 0xffffff                               // 0000000068C4: 8652FF52 00FFFFFF
	s_mul_i32 s82, s82, s71                                    // 0000000068CC: 92524752
	s_mul_i32 s61, s60, s61                                    // 0000000068D0: 923D3D3C
	s_add_u32 s82, s82, s61                                    // 0000000068D4: 80523D52
	v_mul_lo_u32 v7, v4, s82                                   // 0000000068D8: D2850007 0000A504
	v_add_u32_e32 v46, v6, v7                                  // 0000000068E0: 685C0F06
	v_readlane_b32 s82, v3, 10                                 // 0000000068E4: D2890052 00011503
	s_lshr_b32 s61, s82, 24                                    // 0000000068EC: 8F3D9852
	s_and_b32 s82, s82, 0xffffff                               // 0000000068F0: 8652FF52 00FFFFFF
	s_mul_i32 s82, s82, s71                                    // 0000000068F8: 92524752
	s_mul_i32 s61, s60, s61                                    // 0000000068FC: 923D3D3C
	s_add_u32 s82, s82, s61                                    // 000000006900: 80523D52
	v_mul_lo_u32 v6, v5, s82                                   // 000000006904: D2850006 0000A505
	v_readlane_b32 s82, v3, 11                                 // 00000000690C: D2890052 00011703
	s_lshr_b32 s61, s82, 24                                    // 000000006914: 8F3D9852
	s_and_b32 s82, s82, 0xffffff                               // 000000006918: 8652FF52 00FFFFFF
	s_mul_i32 s82, s82, s71                                    // 000000006920: 92524752
	s_mul_i32 s61, s60, s61                                    // 000000006924: 923D3D3C
	s_add_u32 s82, s82, s61                                    // 000000006928: 80523D52
	v_mul_lo_u32 v7, v4, s82                                   // 00000000692C: D2850007 0000A504
	v_add_u32_e32 v47, v6, v7                                  // 000000006934: 685E0F06
	v_and_b32_e32 v4, 31, v0                                   // 000000006938: 2608009F
	v_lshrrev_b32_e32 v4, 1, v4                                // 00000000693C: 20080881
	s_cmp_eq_u32 s88, 0                                        // 000000006940: BF068058
	s_cselect_b32 s61, 2, 4                                    // 000000006944: 853D8482
	v_mul_lo_u32 v4, v4, s61                                   // 000000006948: D2850004 00007B04
	v_and_b32_e64 v5, v0, 1                                    // 000000006950: D1130005 00010300
	v_add_u32_e32 v4, v4, v5                                   // 000000006958: 68080B04
	v_lshlrev_b32_e32 v4, 2, v4                                // 00000000695C: 24080882
	v_add_u32_e32 v42, v42, v4                                 // 000000006960: 6854092A
	v_add_u32_e32 v43, v43, v4                                 // 000000006964: 6856092B
	v_add_u32_e32 v44, v44, v4                                 // 000000006968: 6858092C
	v_add_u32_e32 v45, v45, v4                                 // 00000000696C: 685A092D
	v_add_u32_e32 v46, v46, v4                                 // 000000006970: 685C092E
	v_add_u32_e32 v47, v47, v4                                 // 000000006974: 685E092F
	s_waitcnt lgkmcnt(0)                                       // 000000006978: BF8CC07F
	s_barrier                                                  // 00000000697C: BF8A0000
	ds_read_b32 v52, v21                                       // 000000006980: D86C0000 34000015
	ds_read_b32 v53, v21 offset:64                             // 000000006988: D86C0040 35000015
	ds_read_b32 v56, v21 offset:2176                           // 000000006990: D86C0880 38000015
	ds_read_b32 v57, v21 offset:2240                           // 000000006998: D86C08C0 39000015
	ds_read_b32 v60, v21 offset:4352                           // 0000000069A0: D86C1100 3C000015
	ds_read_b32 v61, v21 offset:4416                           // 0000000069A8: D86C1140 3D000015
	s_waitcnt lgkmcnt(0)                                       // 0000000069B0: BF8CC07F
	s_mov_b32 s36, -1                                          // 0000000069B4: BEA400C1
	s_mov_b32 s37, -1                                          // 0000000069B8: BEA500C1
	v_mov_b32_e32 v7, 0                                        // 0000000069BC: 7E0E0280
	s_mov_b64 exec, s[36:37]                                   // 0000000069C0: BEFE0124
	v_mov_b32_e32 v6, v42                                      // 0000000069C4: 7E0C032A
	s_mov_b64 s[60:61], 0                                      // 0000000069C8: BEBC0180
	v_readlane_b32 s82, v3, 0                                  // 0000000069CC: D2890052 00010103
	s_and_b32 s82, s82, 0xffffff                               // 0000000069D4: 8652FF52 00FFFFFF
	s_cmp_lt_u32 s82, s66                                      // 0000000069DC: BF0A4252
	s_cselect_b32 s20, s36, s60                                // 0000000069E0: 85143C24
	v_readlane_b32 s82, v3, 1                                  // 0000000069E4: D2890052 00010303
	s_and_b32 s82, s82, 0xffffff                               // 0000000069EC: 8652FF52 00FFFFFF
	s_cmp_lt_u32 s82, s66                                      // 0000000069F4: BF0A4252
	s_cselect_b32 s21, s36, s60                                // 0000000069F8: 85153C24
	s_mov_b64 exec, s[20:21]                                   // 0000000069FC: BEFE0114
	global_atomic_add_f32 v6, v52, s[8:9]                      // 000000006A00: DD348000 00083406
	s_mov_b64 exec, s[36:37]                                   // 000000006A08: BEFE0124
	v_mov_b32_e32 v6, v43                                      // 000000006A0C: 7E0C032B
	s_mov_b64 s[60:61], 0                                      // 000000006A10: BEBC0180
	v_readlane_b32 s82, v3, 2                                  // 000000006A14: D2890052 00010503
	s_and_b32 s82, s82, 0xffffff                               // 000000006A1C: 8652FF52 00FFFFFF
	s_cmp_lt_u32 s82, s66                                      // 000000006A24: BF0A4252
	s_cselect_b32 s20, s36, s60                                // 000000006A28: 85143C24
	v_readlane_b32 s82, v3, 3                                  // 000000006A2C: D2890052 00010703
	s_and_b32 s82, s82, 0xffffff                               // 000000006A34: 8652FF52 00FFFFFF
	s_cmp_lt_u32 s82, s66                                      // 000000006A3C: BF0A4252
	s_cselect_b32 s21, s36, s60                                // 000000006A40: 85153C24
	s_mov_b64 exec, s[20:21]                                   // 000000006A44: BEFE0114
	global_atomic_add_f32 v6, v53, s[8:9]                      // 000000006A48: DD348000 00083506
	s_mov_b64 exec, s[36:37]                                   // 000000006A50: BEFE0124
	v_mov_b32_e32 v6, v44                                      // 000000006A54: 7E0C032C
	s_mov_b64 s[60:61], 0                                      // 000000006A58: BEBC0180
	v_readlane_b32 s82, v3, 4                                  // 000000006A5C: D2890052 00010903
	s_and_b32 s82, s82, 0xffffff                               // 000000006A64: 8652FF52 00FFFFFF
	s_cmp_lt_u32 s82, s66                                      // 000000006A6C: BF0A4252
	s_cselect_b32 s20, s36, s60                                // 000000006A70: 85143C24
	v_readlane_b32 s82, v3, 5                                  // 000000006A74: D2890052 00010B03
	s_and_b32 s82, s82, 0xffffff                               // 000000006A7C: 8652FF52 00FFFFFF
	s_cmp_lt_u32 s82, s66                                      // 000000006A84: BF0A4252
	s_cselect_b32 s21, s36, s60                                // 000000006A88: 85153C24
	s_mov_b64 exec, s[20:21]                                   // 000000006A8C: BEFE0114
	global_atomic_add_f32 v6, v56, s[8:9]                      // 000000006A90: DD348000 00083806
	s_mov_b64 exec, s[36:37]                                   // 000000006A98: BEFE0124
	v_mov_b32_e32 v6, v45                                      // 000000006A9C: 7E0C032D
	s_mov_b64 s[60:61], 0                                      // 000000006AA0: BEBC0180
	v_readlane_b32 s82, v3, 6                                  // 000000006AA4: D2890052 00010D03
	s_and_b32 s82, s82, 0xffffff                               // 000000006AAC: 8652FF52 00FFFFFF
	s_cmp_lt_u32 s82, s66                                      // 000000006AB4: BF0A4252
	s_cselect_b32 s20, s36, s60                                // 000000006AB8: 85143C24
	v_readlane_b32 s82, v3, 7                                  // 000000006ABC: D2890052 00010F03
	s_and_b32 s82, s82, 0xffffff                               // 000000006AC4: 8652FF52 00FFFFFF
	s_cmp_lt_u32 s82, s66                                      // 000000006ACC: BF0A4252
	s_cselect_b32 s21, s36, s60                                // 000000006AD0: 85153C24
	s_mov_b64 exec, s[20:21]                                   // 000000006AD4: BEFE0114
	global_atomic_add_f32 v6, v57, s[8:9]                      // 000000006AD8: DD348000 00083906
	s_mov_b64 exec, s[36:37]                                   // 000000006AE0: BEFE0124
	v_mov_b32_e32 v6, v46                                      // 000000006AE4: 7E0C032E
	s_mov_b64 s[60:61], 0                                      // 000000006AE8: BEBC0180
	v_readlane_b32 s82, v3, 8                                  // 000000006AEC: D2890052 00011103
	s_and_b32 s82, s82, 0xffffff                               // 000000006AF4: 8652FF52 00FFFFFF
	s_cmp_lt_u32 s82, s66                                      // 000000006AFC: BF0A4252
	s_cselect_b32 s20, s36, s60                                // 000000006B00: 85143C24
	v_readlane_b32 s82, v3, 9                                  // 000000006B04: D2890052 00011303
	s_and_b32 s82, s82, 0xffffff                               // 000000006B0C: 8652FF52 00FFFFFF
	s_cmp_lt_u32 s82, s66                                      // 000000006B14: BF0A4252
	s_cselect_b32 s21, s36, s60                                // 000000006B18: 85153C24
	s_mov_b64 exec, s[20:21]                                   // 000000006B1C: BEFE0114
	global_atomic_add_f32 v6, v60, s[8:9]                      // 000000006B20: DD348000 00083C06
	s_mov_b64 exec, s[36:37]                                   // 000000006B28: BEFE0124
	v_mov_b32_e32 v6, v47                                      // 000000006B2C: 7E0C032F
	s_mov_b64 s[60:61], 0                                      // 000000006B30: BEBC0180
	v_readlane_b32 s82, v3, 10                                 // 000000006B34: D2890052 00011503
	s_and_b32 s82, s82, 0xffffff                               // 000000006B3C: 8652FF52 00FFFFFF
	s_cmp_lt_u32 s82, s66                                      // 000000006B44: BF0A4252
	s_cselect_b32 s20, s36, s60                                // 000000006B48: 85143C24
	v_readlane_b32 s82, v3, 11                                 // 000000006B4C: D2890052 00011703
	s_and_b32 s82, s82, 0xffffff                               // 000000006B54: 8652FF52 00FFFFFF
	s_cmp_lt_u32 s82, s66                                      // 000000006B5C: BF0A4252
	s_cselect_b32 s21, s36, s60                                // 000000006B60: 85153C24
	s_mov_b64 exec, s[20:21]                                   // 000000006B64: BEFE0114
	global_atomic_add_f32 v6, v61, s[8:9]                      // 000000006B68: DD348000 00083D06
	s_mov_b64 exec, s[36:37]                                   // 000000006B70: BEFE0124
	ds_write_b64 v20, v[54:55]                                 // 000000006B74: D89A0000 00003614
	ds_write_b64 v20, v[58:59] offset:2176                     // 000000006B7C: D89A0880 00003A14
	ds_write_b64 v20, v[62:63] offset:4352                     // 000000006B84: D89A1100 00003E14
	s_waitcnt lgkmcnt(0)                                       // 000000006B8C: BF8CC07F
	s_barrier                                                  // 000000006B90: BF8A0000
	ds_read_b32 v54, v21                                       // 000000006B94: D86C0000 36000015
	ds_read_b32 v55, v21 offset:64                             // 000000006B9C: D86C0040 37000015
	ds_read_b32 v58, v21 offset:2176                           // 000000006BA4: D86C0880 3A000015
	ds_read_b32 v59, v21 offset:2240                           // 000000006BAC: D86C08C0 3B000015
	ds_read_b32 v62, v21 offset:4352                           // 000000006BB4: D86C1100 3E000015
	ds_read_b32 v63, v21 offset:4416                           // 000000006BBC: D86C1140 3F000015
	s_waitcnt lgkmcnt(0)                                       // 000000006BC4: BF8CC07F
	v_mov_b32_e32 v7, 0                                        // 000000006BC8: 7E0E0280
	s_mov_b64 exec, s[36:37]                                   // 000000006BCC: BEFE0124
	v_mov_b32_e32 v6, v42                                      // 000000006BD0: 7E0C032A
	s_mov_b64 s[60:61], 0                                      // 000000006BD4: BEBC0180
	v_readlane_b32 s82, v3, 0                                  // 000000006BD8: D2890052 00010103
	s_and_b32 s82, s82, 0xffffff                               // 000000006BE0: 8652FF52 00FFFFFF
	s_cmp_lt_u32 s82, s66                                      // 000000006BE8: BF0A4252
	s_cselect_b32 s20, s36, s60                                // 000000006BEC: 85143C24
	v_readlane_b32 s82, v3, 1                                  // 000000006BF0: D2890052 00010303
	s_and_b32 s82, s82, 0xffffff                               // 000000006BF8: 8652FF52 00FFFFFF
	s_cmp_lt_u32 s82, s66                                      // 000000006C00: BF0A4252
	s_cselect_b32 s21, s36, s60                                // 000000006C04: 85153C24
	s_mov_b64 exec, s[20:21]                                   // 000000006C08: BEFE0114
	global_atomic_add_f32 v6, v54, s[8:9] offset:8             // 000000006C0C: DD348008 00083606
	s_mov_b64 exec, s[36:37]                                   // 000000006C14: BEFE0124
	v_mov_b32_e32 v6, v43                                      // 000000006C18: 7E0C032B
	s_mov_b64 s[60:61], 0                                      // 000000006C1C: BEBC0180
	v_readlane_b32 s82, v3, 2                                  // 000000006C20: D2890052 00010503
	s_and_b32 s82, s82, 0xffffff                               // 000000006C28: 8652FF52 00FFFFFF
	s_cmp_lt_u32 s82, s66                                      // 000000006C30: BF0A4252
	s_cselect_b32 s20, s36, s60                                // 000000006C34: 85143C24
	v_readlane_b32 s82, v3, 3                                  // 000000006C38: D2890052 00010703
	s_and_b32 s82, s82, 0xffffff                               // 000000006C40: 8652FF52 00FFFFFF
	s_cmp_lt_u32 s82, s66                                      // 000000006C48: BF0A4252
	s_cselect_b32 s21, s36, s60                                // 000000006C4C: 85153C24
	s_mov_b64 exec, s[20:21]                                   // 000000006C50: BEFE0114
	global_atomic_add_f32 v6, v55, s[8:9] offset:8             // 000000006C54: DD348008 00083706
	s_mov_b64 exec, s[36:37]                                   // 000000006C5C: BEFE0124
	v_mov_b32_e32 v6, v44                                      // 000000006C60: 7E0C032C
	s_mov_b64 s[60:61], 0                                      // 000000006C64: BEBC0180
	v_readlane_b32 s82, v3, 4                                  // 000000006C68: D2890052 00010903
	s_and_b32 s82, s82, 0xffffff                               // 000000006C70: 8652FF52 00FFFFFF
	s_cmp_lt_u32 s82, s66                                      // 000000006C78: BF0A4252
	s_cselect_b32 s20, s36, s60                                // 000000006C7C: 85143C24
	v_readlane_b32 s82, v3, 5                                  // 000000006C80: D2890052 00010B03
	s_and_b32 s82, s82, 0xffffff                               // 000000006C88: 8652FF52 00FFFFFF
	s_cmp_lt_u32 s82, s66                                      // 000000006C90: BF0A4252
	s_cselect_b32 s21, s36, s60                                // 000000006C94: 85153C24
	s_mov_b64 exec, s[20:21]                                   // 000000006C98: BEFE0114
	global_atomic_add_f32 v6, v58, s[8:9] offset:8             // 000000006C9C: DD348008 00083A06
	s_mov_b64 exec, s[36:37]                                   // 000000006CA4: BEFE0124
	v_mov_b32_e32 v6, v45                                      // 000000006CA8: 7E0C032D
	s_mov_b64 s[60:61], 0                                      // 000000006CAC: BEBC0180
	v_readlane_b32 s82, v3, 6                                  // 000000006CB0: D2890052 00010D03
	s_and_b32 s82, s82, 0xffffff                               // 000000006CB8: 8652FF52 00FFFFFF
	s_cmp_lt_u32 s82, s66                                      // 000000006CC0: BF0A4252
	s_cselect_b32 s20, s36, s60                                // 000000006CC4: 85143C24
	v_readlane_b32 s82, v3, 7                                  // 000000006CC8: D2890052 00010F03
	s_and_b32 s82, s82, 0xffffff                               // 000000006CD0: 8652FF52 00FFFFFF
	s_cmp_lt_u32 s82, s66                                      // 000000006CD8: BF0A4252
	s_cselect_b32 s21, s36, s60                                // 000000006CDC: 85153C24
	s_mov_b64 exec, s[20:21]                                   // 000000006CE0: BEFE0114
	global_atomic_add_f32 v6, v59, s[8:9] offset:8             // 000000006CE4: DD348008 00083B06
	s_mov_b64 exec, s[36:37]                                   // 000000006CEC: BEFE0124
	v_mov_b32_e32 v6, v46                                      // 000000006CF0: 7E0C032E
	s_mov_b64 s[60:61], 0                                      // 000000006CF4: BEBC0180
	v_readlane_b32 s82, v3, 8                                  // 000000006CF8: D2890052 00011103
	s_and_b32 s82, s82, 0xffffff                               // 000000006D00: 8652FF52 00FFFFFF
	s_cmp_lt_u32 s82, s66                                      // 000000006D08: BF0A4252
	s_cselect_b32 s20, s36, s60                                // 000000006D0C: 85143C24
	v_readlane_b32 s82, v3, 9                                  // 000000006D10: D2890052 00011303
	s_and_b32 s82, s82, 0xffffff                               // 000000006D18: 8652FF52 00FFFFFF
	s_cmp_lt_u32 s82, s66                                      // 000000006D20: BF0A4252
	s_cselect_b32 s21, s36, s60                                // 000000006D24: 85153C24
	s_mov_b64 exec, s[20:21]                                   // 000000006D28: BEFE0114
	global_atomic_add_f32 v6, v62, s[8:9] offset:8             // 000000006D2C: DD348008 00083E06
	s_mov_b64 exec, s[36:37]                                   // 000000006D34: BEFE0124
	v_mov_b32_e32 v6, v47                                      // 000000006D38: 7E0C032F
	s_mov_b64 s[60:61], 0                                      // 000000006D3C: BEBC0180
	v_readlane_b32 s82, v3, 10                                 // 000000006D40: D2890052 00011503
	s_and_b32 s82, s82, 0xffffff                               // 000000006D48: 8652FF52 00FFFFFF
	s_cmp_lt_u32 s82, s66                                      // 000000006D50: BF0A4252
	s_cselect_b32 s20, s36, s60                                // 000000006D54: 85143C24
	v_readlane_b32 s82, v3, 11                                 // 000000006D58: D2890052 00011703
	s_and_b32 s82, s82, 0xffffff                               // 000000006D60: 8652FF52 00FFFFFF
	s_cmp_lt_u32 s82, s66                                      // 000000006D68: BF0A4252
	s_cselect_b32 s21, s36, s60                                // 000000006D6C: 85153C24
	s_mov_b64 exec, s[20:21]                                   // 000000006D70: BEFE0114
	global_atomic_add_f32 v6, v63, s[8:9] offset:8             // 000000006D74: DD348008 00083F06
	s_mov_b64 exec, s[36:37]                                   // 000000006D7C: BEFE0124
	ds_write_b64 v20, v[64:65]                                 // 000000006D80: D89A0000 00004014
	ds_write_b64 v20, v[68:69] offset:2176                     // 000000006D88: D89A0880 00004414
	ds_write_b64 v20, v[72:73] offset:4352                     // 000000006D90: D89A1100 00004814
	s_waitcnt lgkmcnt(0)                                       // 000000006D98: BF8CC07F
	s_barrier                                                  // 000000006D9C: BF8A0000
	ds_read_b32 v64, v21                                       // 000000006DA0: D86C0000 40000015
	ds_read_b32 v65, v21 offset:64                             // 000000006DA8: D86C0040 41000015
	ds_read_b32 v68, v21 offset:2176                           // 000000006DB0: D86C0880 44000015
	ds_read_b32 v69, v21 offset:2240                           // 000000006DB8: D86C08C0 45000015
	ds_read_b32 v72, v21 offset:4352                           // 000000006DC0: D86C1100 48000015
	ds_read_b32 v73, v21 offset:4416                           // 000000006DC8: D86C1140 49000015
	s_mul_i32 s60, s65, 4                                      // 000000006DD0: 923C8441
	s_add_u32 s8, s60, s8                                      // 000000006DD4: 8008083C
	s_addc_u32 s9, 0, s9                                       // 000000006DD8: 82090980
	s_waitcnt lgkmcnt(0)                                       // 000000006DDC: BF8CC07F
	v_mov_b32_e32 v7, 0                                        // 000000006DE0: 7E0E0280
	s_mov_b64 exec, s[36:37]                                   // 000000006DE4: BEFE0124
	v_mov_b32_e32 v6, v42                                      // 000000006DE8: 7E0C032A
	s_mov_b64 s[60:61], 0                                      // 000000006DEC: BEBC0180
	v_readlane_b32 s82, v3, 0                                  // 000000006DF0: D2890052 00010103
	s_and_b32 s82, s82, 0xffffff                               // 000000006DF8: 8652FF52 00FFFFFF
	s_cmp_lt_u32 s82, s66                                      // 000000006E00: BF0A4252
	s_cselect_b32 s20, s36, s60                                // 000000006E04: 85143C24
	v_readlane_b32 s82, v3, 1                                  // 000000006E08: D2890052 00010303
	s_and_b32 s82, s82, 0xffffff                               // 000000006E10: 8652FF52 00FFFFFF
	s_cmp_lt_u32 s82, s66                                      // 000000006E18: BF0A4252
	s_cselect_b32 s21, s36, s60                                // 000000006E1C: 85153C24
	s_mov_b64 exec, s[20:21]                                   // 000000006E20: BEFE0114
	global_atomic_add_f32 v6, v64, s[8:9]                      // 000000006E24: DD348000 00084006
	s_mov_b64 exec, s[36:37]                                   // 000000006E2C: BEFE0124
	v_mov_b32_e32 v6, v43                                      // 000000006E30: 7E0C032B
	s_mov_b64 s[60:61], 0                                      // 000000006E34: BEBC0180
	v_readlane_b32 s82, v3, 2                                  // 000000006E38: D2890052 00010503
	s_and_b32 s82, s82, 0xffffff                               // 000000006E40: 8652FF52 00FFFFFF
	s_cmp_lt_u32 s82, s66                                      // 000000006E48: BF0A4252
	s_cselect_b32 s20, s36, s60                                // 000000006E4C: 85143C24
	v_readlane_b32 s82, v3, 3                                  // 000000006E50: D2890052 00010703
	s_and_b32 s82, s82, 0xffffff                               // 000000006E58: 8652FF52 00FFFFFF
	s_cmp_lt_u32 s82, s66                                      // 000000006E60: BF0A4252
	s_cselect_b32 s21, s36, s60                                // 000000006E64: 85153C24
	s_mov_b64 exec, s[20:21]                                   // 000000006E68: BEFE0114
	global_atomic_add_f32 v6, v65, s[8:9]                      // 000000006E6C: DD348000 00084106
	s_mov_b64 exec, s[36:37]                                   // 000000006E74: BEFE0124
	v_mov_b32_e32 v6, v44                                      // 000000006E78: 7E0C032C
	s_mov_b64 s[60:61], 0                                      // 000000006E7C: BEBC0180
	v_readlane_b32 s82, v3, 4                                  // 000000006E80: D2890052 00010903
	s_and_b32 s82, s82, 0xffffff                               // 000000006E88: 8652FF52 00FFFFFF
	s_cmp_lt_u32 s82, s66                                      // 000000006E90: BF0A4252
	s_cselect_b32 s20, s36, s60                                // 000000006E94: 85143C24
	v_readlane_b32 s82, v3, 5                                  // 000000006E98: D2890052 00010B03
	s_and_b32 s82, s82, 0xffffff                               // 000000006EA0: 8652FF52 00FFFFFF
	s_cmp_lt_u32 s82, s66                                      // 000000006EA8: BF0A4252
	s_cselect_b32 s21, s36, s60                                // 000000006EAC: 85153C24
	s_mov_b64 exec, s[20:21]                                   // 000000006EB0: BEFE0114
	global_atomic_add_f32 v6, v68, s[8:9]                      // 000000006EB4: DD348000 00084406
	s_mov_b64 exec, s[36:37]                                   // 000000006EBC: BEFE0124
	v_mov_b32_e32 v6, v45                                      // 000000006EC0: 7E0C032D
	s_mov_b64 s[60:61], 0                                      // 000000006EC4: BEBC0180
	v_readlane_b32 s82, v3, 6                                  // 000000006EC8: D2890052 00010D03
	s_and_b32 s82, s82, 0xffffff                               // 000000006ED0: 8652FF52 00FFFFFF
	s_cmp_lt_u32 s82, s66                                      // 000000006ED8: BF0A4252
	s_cselect_b32 s20, s36, s60                                // 000000006EDC: 85143C24
	v_readlane_b32 s82, v3, 7                                  // 000000006EE0: D2890052 00010F03
	s_and_b32 s82, s82, 0xffffff                               // 000000006EE8: 8652FF52 00FFFFFF
	s_cmp_lt_u32 s82, s66                                      // 000000006EF0: BF0A4252
	s_cselect_b32 s21, s36, s60                                // 000000006EF4: 85153C24
	s_mov_b64 exec, s[20:21]                                   // 000000006EF8: BEFE0114
	global_atomic_add_f32 v6, v69, s[8:9]                      // 000000006EFC: DD348000 00084506
	s_mov_b64 exec, s[36:37]                                   // 000000006F04: BEFE0124
	v_mov_b32_e32 v6, v46                                      // 000000006F08: 7E0C032E
	s_mov_b64 s[60:61], 0                                      // 000000006F0C: BEBC0180
	v_readlane_b32 s82, v3, 8                                  // 000000006F10: D2890052 00011103
	s_and_b32 s82, s82, 0xffffff                               // 000000006F18: 8652FF52 00FFFFFF
	s_cmp_lt_u32 s82, s66                                      // 000000006F20: BF0A4252
	s_cselect_b32 s20, s36, s60                                // 000000006F24: 85143C24
	v_readlane_b32 s82, v3, 9                                  // 000000006F28: D2890052 00011303
	s_and_b32 s82, s82, 0xffffff                               // 000000006F30: 8652FF52 00FFFFFF
	s_cmp_lt_u32 s82, s66                                      // 000000006F38: BF0A4252
	s_cselect_b32 s21, s36, s60                                // 000000006F3C: 85153C24
	s_mov_b64 exec, s[20:21]                                   // 000000006F40: BEFE0114
	global_atomic_add_f32 v6, v72, s[8:9]                      // 000000006F44: DD348000 00084806
	s_mov_b64 exec, s[36:37]                                   // 000000006F4C: BEFE0124
	v_mov_b32_e32 v6, v47                                      // 000000006F50: 7E0C032F
	s_mov_b64 s[60:61], 0                                      // 000000006F54: BEBC0180
	v_readlane_b32 s82, v3, 10                                 // 000000006F58: D2890052 00011503
	s_and_b32 s82, s82, 0xffffff                               // 000000006F60: 8652FF52 00FFFFFF
	s_cmp_lt_u32 s82, s66                                      // 000000006F68: BF0A4252
	s_cselect_b32 s20, s36, s60                                // 000000006F6C: 85143C24
	v_readlane_b32 s82, v3, 11                                 // 000000006F70: D2890052 00011703
	s_and_b32 s82, s82, 0xffffff                               // 000000006F78: 8652FF52 00FFFFFF
	s_cmp_lt_u32 s82, s66                                      // 000000006F80: BF0A4252
	s_cselect_b32 s21, s36, s60                                // 000000006F84: 85153C24
	s_mov_b64 exec, s[20:21]                                   // 000000006F88: BEFE0114
	global_atomic_add_f32 v6, v73, s[8:9]                      // 000000006F8C: DD348000 00084906
	s_mov_b64 exec, s[36:37]                                   // 000000006F94: BEFE0124
	ds_write_b64 v20, v[66:67]                                 // 000000006F98: D89A0000 00004214
	ds_write_b64 v20, v[70:71] offset:2176                     // 000000006FA0: D89A0880 00004614
	ds_write_b64 v20, v[74:75] offset:4352                     // 000000006FA8: D89A1100 00004A14
	s_waitcnt lgkmcnt(0)                                       // 000000006FB0: BF8CC07F
	s_barrier                                                  // 000000006FB4: BF8A0000
	ds_read_b32 v66, v21                                       // 000000006FB8: D86C0000 42000015
	ds_read_b32 v67, v21 offset:64                             // 000000006FC0: D86C0040 43000015
	ds_read_b32 v70, v21 offset:2176                           // 000000006FC8: D86C0880 46000015
	ds_read_b32 v71, v21 offset:2240                           // 000000006FD0: D86C08C0 47000015
	ds_read_b32 v74, v21 offset:4352                           // 000000006FD8: D86C1100 4A000015
	ds_read_b32 v75, v21 offset:4416                           // 000000006FE0: D86C1140 4B000015
	s_waitcnt lgkmcnt(0)                                       // 000000006FE8: BF8CC07F
	v_mov_b32_e32 v7, 0                                        // 000000006FEC: 7E0E0280
	s_mov_b64 exec, s[36:37]                                   // 000000006FF0: BEFE0124
	v_mov_b32_e32 v6, v42                                      // 000000006FF4: 7E0C032A
	s_mov_b64 s[60:61], 0                                      // 000000006FF8: BEBC0180
	v_readlane_b32 s82, v3, 0                                  // 000000006FFC: D2890052 00010103
	s_and_b32 s82, s82, 0xffffff                               // 000000007004: 8652FF52 00FFFFFF
	s_cmp_lt_u32 s82, s66                                      // 00000000700C: BF0A4252
	s_cselect_b32 s20, s36, s60                                // 000000007010: 85143C24
	v_readlane_b32 s82, v3, 1                                  // 000000007014: D2890052 00010303
	s_and_b32 s82, s82, 0xffffff                               // 00000000701C: 8652FF52 00FFFFFF
	s_cmp_lt_u32 s82, s66                                      // 000000007024: BF0A4252
	s_cselect_b32 s21, s36, s60                                // 000000007028: 85153C24
	s_mov_b64 exec, s[20:21]                                   // 00000000702C: BEFE0114
	global_atomic_add_f32 v6, v66, s[8:9] offset:8             // 000000007030: DD348008 00084206
	s_mov_b64 exec, s[36:37]                                   // 000000007038: BEFE0124
	v_mov_b32_e32 v6, v43                                      // 00000000703C: 7E0C032B
	s_mov_b64 s[60:61], 0                                      // 000000007040: BEBC0180
	v_readlane_b32 s82, v3, 2                                  // 000000007044: D2890052 00010503
	s_and_b32 s82, s82, 0xffffff                               // 00000000704C: 8652FF52 00FFFFFF
	s_cmp_lt_u32 s82, s66                                      // 000000007054: BF0A4252
	s_cselect_b32 s20, s36, s60                                // 000000007058: 85143C24
	v_readlane_b32 s82, v3, 3                                  // 00000000705C: D2890052 00010703
	s_and_b32 s82, s82, 0xffffff                               // 000000007064: 8652FF52 00FFFFFF
	s_cmp_lt_u32 s82, s66                                      // 00000000706C: BF0A4252
	s_cselect_b32 s21, s36, s60                                // 000000007070: 85153C24
	s_mov_b64 exec, s[20:21]                                   // 000000007074: BEFE0114
	global_atomic_add_f32 v6, v67, s[8:9] offset:8             // 000000007078: DD348008 00084306
	s_mov_b64 exec, s[36:37]                                   // 000000007080: BEFE0124
	v_mov_b32_e32 v6, v44                                      // 000000007084: 7E0C032C
	s_mov_b64 s[60:61], 0                                      // 000000007088: BEBC0180
	v_readlane_b32 s82, v3, 4                                  // 00000000708C: D2890052 00010903
	s_and_b32 s82, s82, 0xffffff                               // 000000007094: 8652FF52 00FFFFFF
	s_cmp_lt_u32 s82, s66                                      // 00000000709C: BF0A4252
	s_cselect_b32 s20, s36, s60                                // 0000000070A0: 85143C24
	v_readlane_b32 s82, v3, 5                                  // 0000000070A4: D2890052 00010B03
	s_and_b32 s82, s82, 0xffffff                               // 0000000070AC: 8652FF52 00FFFFFF
	s_cmp_lt_u32 s82, s66                                      // 0000000070B4: BF0A4252
	s_cselect_b32 s21, s36, s60                                // 0000000070B8: 85153C24
	s_mov_b64 exec, s[20:21]                                   // 0000000070BC: BEFE0114
	global_atomic_add_f32 v6, v70, s[8:9] offset:8             // 0000000070C0: DD348008 00084606
	s_mov_b64 exec, s[36:37]                                   // 0000000070C8: BEFE0124
	v_mov_b32_e32 v6, v45                                      // 0000000070CC: 7E0C032D
	s_mov_b64 s[60:61], 0                                      // 0000000070D0: BEBC0180
	v_readlane_b32 s82, v3, 6                                  // 0000000070D4: D2890052 00010D03
	s_and_b32 s82, s82, 0xffffff                               // 0000000070DC: 8652FF52 00FFFFFF
	s_cmp_lt_u32 s82, s66                                      // 0000000070E4: BF0A4252
	s_cselect_b32 s20, s36, s60                                // 0000000070E8: 85143C24
	v_readlane_b32 s82, v3, 7                                  // 0000000070EC: D2890052 00010F03
	s_and_b32 s82, s82, 0xffffff                               // 0000000070F4: 8652FF52 00FFFFFF
	s_cmp_lt_u32 s82, s66                                      // 0000000070FC: BF0A4252
	s_cselect_b32 s21, s36, s60                                // 000000007100: 85153C24
	s_mov_b64 exec, s[20:21]                                   // 000000007104: BEFE0114
	global_atomic_add_f32 v6, v71, s[8:9] offset:8             // 000000007108: DD348008 00084706
	s_mov_b64 exec, s[36:37]                                   // 000000007110: BEFE0124
	v_mov_b32_e32 v6, v46                                      // 000000007114: 7E0C032E
	s_mov_b64 s[60:61], 0                                      // 000000007118: BEBC0180
	v_readlane_b32 s82, v3, 8                                  // 00000000711C: D2890052 00011103
	s_and_b32 s82, s82, 0xffffff                               // 000000007124: 8652FF52 00FFFFFF
	s_cmp_lt_u32 s82, s66                                      // 00000000712C: BF0A4252
	s_cselect_b32 s20, s36, s60                                // 000000007130: 85143C24
	v_readlane_b32 s82, v3, 9                                  // 000000007134: D2890052 00011303
	s_and_b32 s82, s82, 0xffffff                               // 00000000713C: 8652FF52 00FFFFFF
	s_cmp_lt_u32 s82, s66                                      // 000000007144: BF0A4252
	s_cselect_b32 s21, s36, s60                                // 000000007148: 85153C24
	s_mov_b64 exec, s[20:21]                                   // 00000000714C: BEFE0114
	global_atomic_add_f32 v6, v74, s[8:9] offset:8             // 000000007150: DD348008 00084A06
	s_mov_b64 exec, s[36:37]                                   // 000000007158: BEFE0124
	v_mov_b32_e32 v6, v47                                      // 00000000715C: 7E0C032F
	s_mov_b64 s[60:61], 0                                      // 000000007160: BEBC0180
	v_readlane_b32 s82, v3, 10                                 // 000000007164: D2890052 00011503
	s_and_b32 s82, s82, 0xffffff                               // 00000000716C: 8652FF52 00FFFFFF
	s_cmp_lt_u32 s82, s66                                      // 000000007174: BF0A4252
	s_cselect_b32 s20, s36, s60                                // 000000007178: 85143C24
	v_readlane_b32 s82, v3, 11                                 // 00000000717C: D2890052 00011703
	s_and_b32 s82, s82, 0xffffff                               // 000000007184: 8652FF52 00FFFFFF
	s_cmp_lt_u32 s82, s66                                      // 00000000718C: BF0A4252
	s_cselect_b32 s21, s36, s60                                // 000000007190: 85153C24
	s_mov_b64 exec, s[20:21]                                   // 000000007194: BEFE0114
	global_atomic_add_f32 v6, v75, s[8:9] offset:8             // 000000007198: DD348008 00084B06
	s_mov_b64 exec, s[36:37]                                   // 0000000071A0: BEFE0124
	s_branch label_11ED                                        // 0000000071A4: BF820000

00000000000071a8 <label_11ED>:
	s_waitcnt vmcnt(0) expcnt(0) lgkmcnt(0)                    // 0000000071A8: BF8C0000
	s_endpgm                                                   // 0000000071AC: BF810000
